;; amdgpu-corpus repo=ROCm/vllm kind=compiled arch=gfx906 opt=O3
	.amdgcn_target "amdgcn-amd-amdhsa--gfx906"
	.amdhsa_code_object_version 6
	.section	.text._ZN4vllm32rms_norm_static_fp8_quant_kernelIfN3c1013Float8_e4m3fnEEEvPT0_PKT_iS7_PKffii,"axG",@progbits,_ZN4vllm32rms_norm_static_fp8_quant_kernelIfN3c1013Float8_e4m3fnEEEvPT0_PKT_iS7_PKffii,comdat
	.protected	_ZN4vllm32rms_norm_static_fp8_quant_kernelIfN3c1013Float8_e4m3fnEEEvPT0_PKT_iS7_PKffii ; -- Begin function _ZN4vllm32rms_norm_static_fp8_quant_kernelIfN3c1013Float8_e4m3fnEEEvPT0_PKT_iS7_PKffii
	.globl	_ZN4vllm32rms_norm_static_fp8_quant_kernelIfN3c1013Float8_e4m3fnEEEvPT0_PKT_iS7_PKffii
	.p2align	8
	.type	_ZN4vllm32rms_norm_static_fp8_quant_kernelIfN3c1013Float8_e4m3fnEEEvPT0_PKT_iS7_PKffii,@function
_ZN4vllm32rms_norm_static_fp8_quant_kernelIfN3c1013Float8_e4m3fnEEEvPT0_PKT_iS7_PKffii: ; @_ZN4vllm32rms_norm_static_fp8_quant_kernelIfN3c1013Float8_e4m3fnEEEvPT0_PKT_iS7_PKffii
; %bb.0:
	s_load_dword s20, s[4:5], 0x30
	s_load_dwordx2 s[12:13], s[4:5], 0x8
                                        ; implicit-def: $sgpr7
	s_waitcnt lgkmcnt(0)
	v_cmp_gt_i32_e64 s[0:1], s20, v0
	v_cmp_le_i32_e32 vcc, s20, v0
	s_and_saveexec_b64 s[2:3], vcc
	s_xor_b64 s[2:3], exec, s[2:3]
	s_cbranch_execz .LBB0_2
; %bb.1:
	s_load_dword s7, s[4:5], 0x44
	s_waitcnt lgkmcnt(0)
	s_and_b32 s7, s7, 0xffff
.LBB0_2:
	s_or_saveexec_b64 s[2:3], s[2:3]
	s_load_dwordx4 s[8:11], s[4:5], 0x18
	s_load_dwordx2 s[14:15], s[4:5], 0x0
	s_load_dword s18, s[4:5], 0x10
	v_mov_b32_e32 v3, 0
	v_mov_b32_e32 v1, s6
	;; [unrolled: 1-line block ×3, first 2 shown]
	s_xor_b64 exec, exec, s[2:3]
	s_cbranch_execz .LBB0_6
; %bb.3:
	s_load_dword s19, s[4:5], 0x44
	s_waitcnt lgkmcnt(0)
	s_mul_i32 s7, s18, s6
	v_mov_b32_e32 v2, 0
	s_mov_b64 s[16:17], 0
	v_mov_b32_e32 v4, s13
	s_and_b32 s19, s19, 0xffff
	v_mov_b32_e32 v3, 0
	v_mov_b32_e32 v5, v0
.LBB0_4:                                ; =>This Inner Loop Header: Depth=1
	v_add_u32_e32 v1, s7, v5
	v_lshlrev_b64 v[6:7], 2, v[1:2]
	v_add_u32_e32 v5, s19, v5
	v_add_co_u32_e32 v6, vcc, s12, v6
	v_addc_co_u32_e32 v7, vcc, v4, v7, vcc
	global_load_dword v1, v[6:7], off
	v_cmp_le_i32_e32 vcc, s20, v5
	s_or_b64 s[16:17], vcc, s[16:17]
	s_waitcnt vmcnt(0)
	v_fmac_f32_e32 v3, v1, v1
	s_andn2_b64 exec, exec, s[16:17]
	s_cbranch_execnz .LBB0_4
; %bb.5:
	s_or_b64 exec, exec, s[16:17]
	v_mov_b32_e32 v1, s6
	v_mov_b32_e32 v5, s19
.LBB0_6:
	s_or_b64 exec, exec, s[2:3]
	v_mbcnt_lo_u32_b32 v2, -1, 0
	v_mbcnt_hi_u32_b32 v2, -1, v2
	v_and_b32_e32 v4, 63, v2
	v_cmp_ne_u32_e32 vcc, 63, v4
	v_addc_co_u32_e32 v6, vcc, 0, v2, vcc
	v_lshlrev_b32_e32 v6, 2, v6
	ds_bpermute_b32 v6, v6, v3
	v_and_b32_e32 v7, 0x3c0, v0
	v_sub_u32_e64 v7, v5, v7 clamp
	v_add_u32_e32 v8, 1, v2
	v_cmp_lt_u32_e32 vcc, v8, v7
	s_waitcnt lgkmcnt(0)
	v_add_f32_e32 v6, v3, v6
	v_cndmask_b32_e32 v3, v3, v6, vcc
	v_cmp_gt_u32_e32 vcc, 62, v4
	v_cndmask_b32_e64 v6, 0, 2, vcc
	v_add_lshl_u32 v6, v6, v2, 2
	ds_bpermute_b32 v6, v6, v3
	v_add_u32_e32 v8, 2, v2
	v_cmp_lt_u32_e32 vcc, v8, v7
	v_add_u32_e32 v8, 4, v2
	s_waitcnt lgkmcnt(0)
	v_add_f32_e32 v6, v3, v6
	v_cndmask_b32_e32 v3, v3, v6, vcc
	v_cmp_gt_u32_e32 vcc, 60, v4
	v_cndmask_b32_e64 v6, 0, 4, vcc
	v_add_lshl_u32 v6, v6, v2, 2
	ds_bpermute_b32 v6, v6, v3
	v_cmp_lt_u32_e32 vcc, v8, v7
	v_add_u32_e32 v8, 8, v2
	s_waitcnt lgkmcnt(0)
	v_add_f32_e32 v6, v3, v6
	v_cndmask_b32_e32 v3, v3, v6, vcc
	v_cmp_gt_u32_e32 vcc, 56, v4
	v_cndmask_b32_e64 v6, 0, 8, vcc
	v_add_lshl_u32 v6, v6, v2, 2
	ds_bpermute_b32 v6, v6, v3
	;; [unrolled: 9-line block ×3, first 2 shown]
	v_add_u32_e32 v6, 16, v2
	v_cmp_lt_u32_e32 vcc, v6, v7
	s_waitcnt lgkmcnt(0)
	v_add_f32_e32 v4, v3, v4
	v_cndmask_b32_e32 v4, v3, v4, vcc
	v_lshlrev_b32_e32 v3, 2, v2
	v_or_b32_e32 v6, 0x80, v3
	ds_bpermute_b32 v6, v6, v4
	v_cmp_lt_u32_e32 vcc, v8, v7
	s_waitcnt lgkmcnt(0)
	v_add_f32_e32 v6, v4, v6
	v_cndmask_b32_e32 v4, v4, v6, vcc
	v_cmp_eq_u32_e32 vcc, 0, v2
	s_and_saveexec_b64 s[2:3], vcc
; %bb.7:
	v_lshrrev_b32_e32 v6, 4, v0
	v_and_b32_e32 v6, 60, v6
	ds_write_b32 v6, v4
; %bb.8:
	s_or_b64 exec, exec, s[2:3]
	v_cmp_gt_u32_e32 vcc, 16, v0
	s_waitcnt lgkmcnt(0)
	s_barrier
	s_and_saveexec_b64 s[6:7], vcc
	s_cbranch_execz .LBB0_10
; %bb.9:
	ds_read_b32 v4, v3
	v_and_b32_e32 v6, 15, v2
	v_cmp_ne_u32_e32 vcc, 15, v6
	v_addc_co_u32_e32 v7, vcc, 0, v2, vcc
	v_lshlrev_b32_e32 v7, 2, v7
	s_waitcnt lgkmcnt(0)
	ds_bpermute_b32 v7, v7, v4
	v_add_u32_e32 v8, 63, v5
	v_lshrrev_b32_e32 v8, 6, v8
	v_add_u32_e32 v9, 1, v6
	v_cmp_gt_u32_e64 s[2:3], 14, v6
	s_waitcnt lgkmcnt(0)
	v_add_f32_e32 v7, v4, v7
	v_cmp_lt_u32_e32 vcc, v9, v8
	v_cndmask_b32_e64 v9, 0, 2, s[2:3]
	v_cndmask_b32_e32 v7, v4, v7, vcc
	v_add_lshl_u32 v9, v9, v2, 2
	ds_bpermute_b32 v9, v9, v7
	v_add_u32_e32 v10, 2, v6
	v_cmp_lt_u32_e64 s[2:3], v10, v8
	v_or_b32_e32 v3, 32, v3
	s_waitcnt lgkmcnt(0)
	v_add_f32_e32 v9, v7, v9
	v_cndmask_b32_e64 v7, v7, v9, s[2:3]
	v_cmp_gt_u32_e64 s[2:3], 12, v6
	v_cndmask_b32_e64 v9, 0, 4, s[2:3]
	v_add_lshl_u32 v2, v9, v2, 2
	ds_bpermute_b32 v2, v2, v7
	v_add_u32_e32 v9, 4, v6
	v_cmp_lt_u32_e64 s[2:3], v9, v8
	v_add_u32_e32 v6, 8, v6
	s_waitcnt lgkmcnt(0)
	v_add_f32_e32 v2, v7, v2
	v_cndmask_b32_e64 v2, v7, v2, s[2:3]
	ds_bpermute_b32 v3, v3, v2
	v_cmp_lt_u32_e64 s[2:3], v6, v8
	s_waitcnt lgkmcnt(0)
	v_add_f32_e32 v3, v2, v3
	v_cndmask_b32_e64 v2, v2, v3, s[2:3]
	v_cndmask_b32_e32 v4, v4, v2, vcc
.LBB0_10:
	s_or_b64 exec, exec, s[6:7]
	v_cmp_eq_u32_e32 vcc, 0, v0
	s_and_saveexec_b64 s[2:3], vcc
	s_cbranch_execz .LBB0_12
; %bb.11:
	v_cvt_f32_i32_e32 v2, s20
	s_load_dword s4, s[4:5], 0x28
	s_mov_b32 s5, 0x800000
	v_div_scale_f32 v3, s[6:7], v2, v2, v4
	v_div_scale_f32 v6, vcc, v4, v2, v4
	v_rcp_f32_e32 v7, v3
	v_fma_f32 v8, -v3, v7, 1.0
	v_fmac_f32_e32 v7, v8, v7
	v_mul_f32_e32 v8, v6, v7
	v_fma_f32 v9, -v3, v8, v6
	v_fmac_f32_e32 v8, v9, v7
	v_fma_f32 v3, -v3, v8, v6
	v_div_fmas_f32 v3, v3, v7, v8
	v_div_fixup_f32 v2, v3, v2, v4
	s_waitcnt lgkmcnt(0)
	v_add_f32_e32 v2, s4, v2
	v_mul_f32_e32 v3, 0x4b800000, v2
	v_cmp_gt_f32_e32 vcc, s5, v2
	v_cndmask_b32_e32 v2, v2, v3, vcc
	v_rsq_f32_e32 v2, v2
	v_mul_f32_e32 v3, 0x45800000, v2
	v_cndmask_b32_e32 v2, v2, v3, vcc
	v_mov_b32_e32 v3, 0
	ds_write_b32 v3, v2 offset:64
.LBB0_12:
	s_or_b64 exec, exec, s[2:3]
	s_waitcnt lgkmcnt(0)
	s_barrier
	s_and_saveexec_b64 s[2:3], s[0:1]
	s_cbranch_execz .LBB0_33
; %bb.13:
	s_load_dword s10, s[10:11], 0x0
	s_mov_b64 s[2:3], 0
	v_mov_b32_e32 v8, s13
	v_mov_b32_e32 v9, s9
	s_mov_b64 s[4:5], 0x7f800000
	s_waitcnt lgkmcnt(0)
	v_div_scale_f32 v2, s[0:1], s10, s10, 1.0
	v_div_scale_f32 v3, vcc, 1.0, s10, 1.0
	s_movk_i32 s9, 0x80
	s_mov_b64 s[6:7], 0x43e00001
	s_movk_i32 s13, 0x79
	s_movk_i32 s21, 0x7f
	v_mov_b32_e32 v11, 0x78
	v_mov_b32_e32 v13, 0xffffff89
	v_rcp_f32_e32 v4, v2
	v_fma_f32 v6, -v2, v4, 1.0
	v_fmac_f32_e32 v4, v6, v4
	v_mul_f32_e32 v6, v3, v4
	v_fma_f32 v7, -v2, v6, v3
	v_fmac_f32_e32 v6, v7, v4
	v_fma_f32 v2, -v2, v6, v3
	v_div_fmas_f32 v3, v2, v4, v6
	v_mov_b32_e32 v2, 0
	ds_read_b32 v10, v2 offset:64
	v_mul_lo_u32 v6, s18, v1
	v_mul_lo_u32 v7, s20, v1
	v_div_fixup_f32 v12, v3, s10, 1.0
	s_branch .LBB0_15
.LBB0_14:                               ;   in Loop: Header=BB0_15 Depth=1
	s_or_b64 exec, exec, s[0:1]
	v_add_u32_e32 v3, v7, v0
	v_add_u32_e32 v0, v0, v5
	v_cmp_le_i32_e32 vcc, s20, v0
	s_or_b64 s[2:3], vcc, s[2:3]
	global_store_byte v3, v1, s[14:15]
	s_andn2_b64 exec, exec, s[2:3]
	s_cbranch_execz .LBB0_33
.LBB0_15:                               ; =>This Inner Loop Header: Depth=1
	v_add_u32_e32 v1, v6, v0
	v_lshlrev_b64 v[3:4], 2, v[1:2]
	v_ashrrev_i32_e32 v1, 31, v0
	v_add_co_u32_e32 v3, vcc, s12, v3
	v_addc_co_u32_e32 v4, vcc, v8, v4, vcc
	global_load_dword v14, v[3:4], off
	v_lshlrev_b64 v[3:4], 2, v[0:1]
	v_add_co_u32_e32 v3, vcc, s8, v3
	v_addc_co_u32_e32 v4, vcc, v9, v4, vcc
	global_load_dword v1, v[3:4], off
	s_waitcnt vmcnt(1) lgkmcnt(0)
	v_mul_f32_e32 v3, v14, v10
	s_waitcnt vmcnt(0)
	v_mul_f32_e32 v1, v3, v1
	v_mul_f32_e32 v1, v12, v1
	v_min_f32_e32 v1, 0x43e00000, v1
	v_max_f32_e32 v3, 0xc3e00000, v1
	v_and_b32_e32 v1, 0x7f800000, v3
	v_cmp_ne_u64_e32 vcc, s[4:5], v[1:2]
                                        ; implicit-def: $vgpr1
	s_and_saveexec_b64 s[0:1], vcc
	s_xor_b64 s[10:11], exec, s[0:1]
	s_cbranch_execz .LBB0_31
; %bb.16:                               ;   in Loop: Header=BB0_15 Depth=1
	v_and_b32_e32 v1, 0x7fffffff, v3
	v_cmp_gt_u64_e32 vcc, s[6:7], v[1:2]
	v_and_b32_sdwa v14, v3, s9 dst_sel:DWORD dst_unused:UNUSED_PAD src0_sel:BYTE_3 src1_sel:DWORD
                                        ; implicit-def: $vgpr1
	s_and_saveexec_b64 s[0:1], vcc
	s_xor_b64 s[16:17], exec, s[0:1]
	s_cbranch_execz .LBB0_28
; %bb.17:                               ;   in Loop: Header=BB0_15 Depth=1
	v_cmp_ne_u32_e32 vcc, 0, v3
	v_mov_b32_e32 v1, 0
	s_and_saveexec_b64 s[18:19], vcc
	s_cbranch_execz .LBB0_27
; %bb.18:                               ;   in Loop: Header=BB0_15 Depth=1
	v_bfe_u32 v17, v3, 23, 8
	v_and_b32_e32 v1, 0x7fffff, v3
	v_sub_u32_e64 v3, s13, v17 clamp
	v_cmp_eq_u32_e32 vcc, 0, v17
	v_cndmask_b32_e32 v18, v3, v11, vcc
	v_or_b32_e32 v15, 0x800000, v1
	v_add_u32_e32 v3, 20, v18
	v_lshlrev_b64 v[3:4], v3, -1
	v_cndmask_b32_e32 v1, v15, v1, vcc
	v_add_u32_e32 v15, 19, v18
	v_lshlrev_b64 v[15:16], v15, 1
	v_bfi_b32 v4, v4, 0, 0
	v_bfi_b32 v3, v3, 0, v1
	v_cmp_eq_u64_e64 s[0:1], v[3:4], v[15:16]
	v_lshrrev_b64 v[3:4], v18, v[1:2]
	v_add_u32_e32 v1, 0xffffff88, v17
	v_cndmask_b32_e32 v1, v1, v13, vcc
	v_lshrrev_b32_e32 v4, 23, v3
	v_add3_u32 v16, v1, v18, v4
	v_and_b32_e32 v1, 0x100000, v3
	v_cmp_eq_u64_e32 vcc, 0, v[1:2]
	v_add_u32_e32 v17, -1, v16
	s_and_b64 vcc, vcc, s[0:1]
	v_subbrev_co_u32_e32 v1, vcc, 0, v3, vcc
	v_and_b32_e32 v1, 0xfffff, v1
	v_add_u32_e32 v1, v1, v3
	v_cmp_ne_u32_e32 vcc, 0, v17
                                        ; implicit-def: $vgpr3_vgpr4
                                        ; implicit-def: $vgpr15
	s_and_saveexec_b64 s[0:1], vcc
	s_xor_b64 s[0:1], exec, s[0:1]
; %bb.19:                               ;   in Loop: Header=BB0_15 Depth=1
	v_and_b32_e32 v18, 0x1000000, v1
	v_mov_b32_e32 v19, v2
	v_cmp_eq_u64_e32 vcc, 0, v[18:19]
	v_bfe_u32 v3, v1, 24, 1
	v_lshrrev_b64 v[3:4], v3, v[1:2]
	v_cndmask_b32_e32 v15, v16, v17, vcc
; %bb.20:                               ;   in Loop: Header=BB0_15 Depth=1
	s_andn2_saveexec_b64 s[0:1], s[0:1]
; %bb.21:                               ;   in Loop: Header=BB0_15 Depth=1
	v_mov_b32_e32 v4, v2
	v_bfe_u32 v15, v1, 23, 1
	v_mov_b32_e32 v3, v1
; %bb.22:                               ;   in Loop: Header=BB0_15 Depth=1
	s_or_b64 exec, exec, s[0:1]
	v_lshrrev_b64 v[3:4], 20, v[3:4]
	v_cmp_gt_i32_e32 vcc, 16, v15
	v_cndmask_b32_e32 v4, 0, v4, vcc
	v_cndmask_b32_e32 v3, 7, v3, vcc
	v_cmp_ne_u64_e32 vcc, 0, v[3:4]
	v_cmp_ne_u32_e64 s[0:1], 0, v15
	s_or_b64 s[0:1], s[0:1], vcc
                                        ; implicit-def: $vgpr1
	s_and_saveexec_b64 s[22:23], s[0:1]
	s_xor_b64 s[0:1], exec, s[22:23]
; %bb.23:                               ;   in Loop: Header=BB0_15 Depth=1
	v_min_i32_e32 v1, 15, v15
	v_lshl_or_b32 v1, v1, 3, v14
	v_and_or_b32 v1, v3, 7, v1
                                        ; implicit-def: $vgpr14
; %bb.24:                               ;   in Loop: Header=BB0_15 Depth=1
	s_andn2_saveexec_b64 s[0:1], s[0:1]
; %bb.25:                               ;   in Loop: Header=BB0_15 Depth=1
	v_mov_b32_e32 v1, v14
; %bb.26:                               ;   in Loop: Header=BB0_15 Depth=1
	s_or_b64 exec, exec, s[0:1]
.LBB0_27:                               ;   in Loop: Header=BB0_15 Depth=1
	s_or_b64 exec, exec, s[18:19]
                                        ; implicit-def: $vgpr14
.LBB0_28:                               ;   in Loop: Header=BB0_15 Depth=1
	s_andn2_saveexec_b64 s[0:1], s[16:17]
; %bb.29:                               ;   in Loop: Header=BB0_15 Depth=1
	v_or_b32_e32 v1, 0x7e, v14
; %bb.30:                               ;   in Loop: Header=BB0_15 Depth=1
	s_or_b64 exec, exec, s[0:1]
                                        ; implicit-def: $vgpr3
.LBB0_31:                               ;   in Loop: Header=BB0_15 Depth=1
	s_andn2_saveexec_b64 s[0:1], s[10:11]
	s_cbranch_execz .LBB0_14
; %bb.32:                               ;   in Loop: Header=BB0_15 Depth=1
	v_or_b32_sdwa v1, v3, s21 dst_sel:DWORD dst_unused:UNUSED_PAD src0_sel:BYTE_3 src1_sel:DWORD
	s_branch .LBB0_14
.LBB0_33:
	s_endpgm
	.section	.rodata,"a",@progbits
	.p2align	6, 0x0
	.amdhsa_kernel _ZN4vllm32rms_norm_static_fp8_quant_kernelIfN3c1013Float8_e4m3fnEEEvPT0_PKT_iS7_PKffii
		.amdhsa_group_segment_fixed_size 68
		.amdhsa_private_segment_fixed_size 0
		.amdhsa_kernarg_size 312
		.amdhsa_user_sgpr_count 6
		.amdhsa_user_sgpr_private_segment_buffer 1
		.amdhsa_user_sgpr_dispatch_ptr 0
		.amdhsa_user_sgpr_queue_ptr 0
		.amdhsa_user_sgpr_kernarg_segment_ptr 1
		.amdhsa_user_sgpr_dispatch_id 0
		.amdhsa_user_sgpr_flat_scratch_init 0
		.amdhsa_user_sgpr_private_segment_size 0
		.amdhsa_uses_dynamic_stack 0
		.amdhsa_system_sgpr_private_segment_wavefront_offset 0
		.amdhsa_system_sgpr_workgroup_id_x 1
		.amdhsa_system_sgpr_workgroup_id_y 0
		.amdhsa_system_sgpr_workgroup_id_z 0
		.amdhsa_system_sgpr_workgroup_info 0
		.amdhsa_system_vgpr_workitem_id 0
		.amdhsa_next_free_vgpr 20
		.amdhsa_next_free_sgpr 24
		.amdhsa_reserve_vcc 1
		.amdhsa_reserve_flat_scratch 0
		.amdhsa_float_round_mode_32 0
		.amdhsa_float_round_mode_16_64 0
		.amdhsa_float_denorm_mode_32 3
		.amdhsa_float_denorm_mode_16_64 3
		.amdhsa_dx10_clamp 1
		.amdhsa_ieee_mode 1
		.amdhsa_fp16_overflow 0
		.amdhsa_exception_fp_ieee_invalid_op 0
		.amdhsa_exception_fp_denorm_src 0
		.amdhsa_exception_fp_ieee_div_zero 0
		.amdhsa_exception_fp_ieee_overflow 0
		.amdhsa_exception_fp_ieee_underflow 0
		.amdhsa_exception_fp_ieee_inexact 0
		.amdhsa_exception_int_div_zero 0
	.end_amdhsa_kernel
	.section	.text._ZN4vllm32rms_norm_static_fp8_quant_kernelIfN3c1013Float8_e4m3fnEEEvPT0_PKT_iS7_PKffii,"axG",@progbits,_ZN4vllm32rms_norm_static_fp8_quant_kernelIfN3c1013Float8_e4m3fnEEEvPT0_PKT_iS7_PKffii,comdat
.Lfunc_end0:
	.size	_ZN4vllm32rms_norm_static_fp8_quant_kernelIfN3c1013Float8_e4m3fnEEEvPT0_PKT_iS7_PKffii, .Lfunc_end0-_ZN4vllm32rms_norm_static_fp8_quant_kernelIfN3c1013Float8_e4m3fnEEEvPT0_PKT_iS7_PKffii
                                        ; -- End function
	.set _ZN4vllm32rms_norm_static_fp8_quant_kernelIfN3c1013Float8_e4m3fnEEEvPT0_PKT_iS7_PKffii.num_vgpr, 20
	.set _ZN4vllm32rms_norm_static_fp8_quant_kernelIfN3c1013Float8_e4m3fnEEEvPT0_PKT_iS7_PKffii.num_agpr, 0
	.set _ZN4vllm32rms_norm_static_fp8_quant_kernelIfN3c1013Float8_e4m3fnEEEvPT0_PKT_iS7_PKffii.numbered_sgpr, 24
	.set _ZN4vllm32rms_norm_static_fp8_quant_kernelIfN3c1013Float8_e4m3fnEEEvPT0_PKT_iS7_PKffii.num_named_barrier, 0
	.set _ZN4vllm32rms_norm_static_fp8_quant_kernelIfN3c1013Float8_e4m3fnEEEvPT0_PKT_iS7_PKffii.private_seg_size, 0
	.set _ZN4vllm32rms_norm_static_fp8_quant_kernelIfN3c1013Float8_e4m3fnEEEvPT0_PKT_iS7_PKffii.uses_vcc, 1
	.set _ZN4vllm32rms_norm_static_fp8_quant_kernelIfN3c1013Float8_e4m3fnEEEvPT0_PKT_iS7_PKffii.uses_flat_scratch, 0
	.set _ZN4vllm32rms_norm_static_fp8_quant_kernelIfN3c1013Float8_e4m3fnEEEvPT0_PKT_iS7_PKffii.has_dyn_sized_stack, 0
	.set _ZN4vllm32rms_norm_static_fp8_quant_kernelIfN3c1013Float8_e4m3fnEEEvPT0_PKT_iS7_PKffii.has_recursion, 0
	.set _ZN4vllm32rms_norm_static_fp8_quant_kernelIfN3c1013Float8_e4m3fnEEEvPT0_PKT_iS7_PKffii.has_indirect_call, 0
	.section	.AMDGPU.csdata,"",@progbits
; Kernel info:
; codeLenInByte = 1716
; TotalNumSgprs: 28
; NumVgprs: 20
; ScratchSize: 0
; MemoryBound: 0
; FloatMode: 240
; IeeeMode: 1
; LDSByteSize: 68 bytes/workgroup (compile time only)
; SGPRBlocks: 3
; VGPRBlocks: 4
; NumSGPRsForWavesPerEU: 28
; NumVGPRsForWavesPerEU: 20
; Occupancy: 10
; WaveLimiterHint : 0
; COMPUTE_PGM_RSRC2:SCRATCH_EN: 0
; COMPUTE_PGM_RSRC2:USER_SGPR: 6
; COMPUTE_PGM_RSRC2:TRAP_HANDLER: 0
; COMPUTE_PGM_RSRC2:TGID_X_EN: 1
; COMPUTE_PGM_RSRC2:TGID_Y_EN: 0
; COMPUTE_PGM_RSRC2:TGID_Z_EN: 0
; COMPUTE_PGM_RSRC2:TIDIG_COMP_CNT: 0
	.section	.text._ZN4vllm32rms_norm_static_fp8_quant_kernelIfN3c1015Float8_e4m3fnuzEEEvPT0_PKT_iS7_PKffii,"axG",@progbits,_ZN4vllm32rms_norm_static_fp8_quant_kernelIfN3c1015Float8_e4m3fnuzEEEvPT0_PKT_iS7_PKffii,comdat
	.protected	_ZN4vllm32rms_norm_static_fp8_quant_kernelIfN3c1015Float8_e4m3fnuzEEEvPT0_PKT_iS7_PKffii ; -- Begin function _ZN4vllm32rms_norm_static_fp8_quant_kernelIfN3c1015Float8_e4m3fnuzEEEvPT0_PKT_iS7_PKffii
	.globl	_ZN4vllm32rms_norm_static_fp8_quant_kernelIfN3c1015Float8_e4m3fnuzEEEvPT0_PKT_iS7_PKffii
	.p2align	8
	.type	_ZN4vllm32rms_norm_static_fp8_quant_kernelIfN3c1015Float8_e4m3fnuzEEEvPT0_PKT_iS7_PKffii,@function
_ZN4vllm32rms_norm_static_fp8_quant_kernelIfN3c1015Float8_e4m3fnuzEEEvPT0_PKT_iS7_PKffii: ; @_ZN4vllm32rms_norm_static_fp8_quant_kernelIfN3c1015Float8_e4m3fnuzEEEvPT0_PKT_iS7_PKffii
; %bb.0:
	s_load_dword s20, s[4:5], 0x30
	s_load_dwordx2 s[12:13], s[4:5], 0x8
                                        ; implicit-def: $sgpr7
	s_waitcnt lgkmcnt(0)
	v_cmp_gt_i32_e64 s[0:1], s20, v0
	v_cmp_le_i32_e32 vcc, s20, v0
	s_and_saveexec_b64 s[2:3], vcc
	s_xor_b64 s[2:3], exec, s[2:3]
	s_cbranch_execz .LBB1_2
; %bb.1:
	s_load_dword s7, s[4:5], 0x44
	s_waitcnt lgkmcnt(0)
	s_and_b32 s7, s7, 0xffff
.LBB1_2:
	s_or_saveexec_b64 s[2:3], s[2:3]
	s_load_dwordx4 s[8:11], s[4:5], 0x18
	s_load_dwordx2 s[14:15], s[4:5], 0x0
	s_load_dword s18, s[4:5], 0x10
	v_mov_b32_e32 v3, 0
	v_mov_b32_e32 v1, s6
	;; [unrolled: 1-line block ×3, first 2 shown]
	s_xor_b64 exec, exec, s[2:3]
	s_cbranch_execz .LBB1_6
; %bb.3:
	s_load_dword s19, s[4:5], 0x44
	s_waitcnt lgkmcnt(0)
	s_mul_i32 s7, s18, s6
	v_mov_b32_e32 v2, 0
	s_mov_b64 s[16:17], 0
	v_mov_b32_e32 v4, s13
	s_and_b32 s19, s19, 0xffff
	v_mov_b32_e32 v3, 0
	v_mov_b32_e32 v5, v0
.LBB1_4:                                ; =>This Inner Loop Header: Depth=1
	v_add_u32_e32 v1, s7, v5
	v_lshlrev_b64 v[6:7], 2, v[1:2]
	v_add_u32_e32 v5, s19, v5
	v_add_co_u32_e32 v6, vcc, s12, v6
	v_addc_co_u32_e32 v7, vcc, v4, v7, vcc
	global_load_dword v1, v[6:7], off
	v_cmp_le_i32_e32 vcc, s20, v5
	s_or_b64 s[16:17], vcc, s[16:17]
	s_waitcnt vmcnt(0)
	v_fmac_f32_e32 v3, v1, v1
	s_andn2_b64 exec, exec, s[16:17]
	s_cbranch_execnz .LBB1_4
; %bb.5:
	s_or_b64 exec, exec, s[16:17]
	v_mov_b32_e32 v1, s6
	v_mov_b32_e32 v5, s19
.LBB1_6:
	s_or_b64 exec, exec, s[2:3]
	v_mbcnt_lo_u32_b32 v2, -1, 0
	v_mbcnt_hi_u32_b32 v2, -1, v2
	v_and_b32_e32 v4, 63, v2
	v_cmp_ne_u32_e32 vcc, 63, v4
	v_addc_co_u32_e32 v6, vcc, 0, v2, vcc
	v_lshlrev_b32_e32 v6, 2, v6
	ds_bpermute_b32 v6, v6, v3
	v_and_b32_e32 v7, 0x3c0, v0
	v_sub_u32_e64 v7, v5, v7 clamp
	v_add_u32_e32 v8, 1, v2
	v_cmp_lt_u32_e32 vcc, v8, v7
	s_waitcnt lgkmcnt(0)
	v_add_f32_e32 v6, v3, v6
	v_cndmask_b32_e32 v3, v3, v6, vcc
	v_cmp_gt_u32_e32 vcc, 62, v4
	v_cndmask_b32_e64 v6, 0, 2, vcc
	v_add_lshl_u32 v6, v6, v2, 2
	ds_bpermute_b32 v6, v6, v3
	v_add_u32_e32 v8, 2, v2
	v_cmp_lt_u32_e32 vcc, v8, v7
	v_add_u32_e32 v8, 4, v2
	s_waitcnt lgkmcnt(0)
	v_add_f32_e32 v6, v3, v6
	v_cndmask_b32_e32 v3, v3, v6, vcc
	v_cmp_gt_u32_e32 vcc, 60, v4
	v_cndmask_b32_e64 v6, 0, 4, vcc
	v_add_lshl_u32 v6, v6, v2, 2
	ds_bpermute_b32 v6, v6, v3
	v_cmp_lt_u32_e32 vcc, v8, v7
	v_add_u32_e32 v8, 8, v2
	s_waitcnt lgkmcnt(0)
	v_add_f32_e32 v6, v3, v6
	v_cndmask_b32_e32 v3, v3, v6, vcc
	v_cmp_gt_u32_e32 vcc, 56, v4
	v_cndmask_b32_e64 v6, 0, 8, vcc
	v_add_lshl_u32 v6, v6, v2, 2
	ds_bpermute_b32 v6, v6, v3
	;; [unrolled: 9-line block ×3, first 2 shown]
	v_add_u32_e32 v6, 16, v2
	v_cmp_lt_u32_e32 vcc, v6, v7
	s_waitcnt lgkmcnt(0)
	v_add_f32_e32 v4, v3, v4
	v_cndmask_b32_e32 v4, v3, v4, vcc
	v_lshlrev_b32_e32 v3, 2, v2
	v_or_b32_e32 v6, 0x80, v3
	ds_bpermute_b32 v6, v6, v4
	v_cmp_lt_u32_e32 vcc, v8, v7
	s_waitcnt lgkmcnt(0)
	v_add_f32_e32 v6, v4, v6
	v_cndmask_b32_e32 v4, v4, v6, vcc
	v_cmp_eq_u32_e32 vcc, 0, v2
	s_and_saveexec_b64 s[2:3], vcc
; %bb.7:
	v_lshrrev_b32_e32 v6, 4, v0
	v_and_b32_e32 v6, 60, v6
	ds_write_b32 v6, v4
; %bb.8:
	s_or_b64 exec, exec, s[2:3]
	v_cmp_gt_u32_e32 vcc, 16, v0
	s_waitcnt lgkmcnt(0)
	s_barrier
	s_and_saveexec_b64 s[6:7], vcc
	s_cbranch_execz .LBB1_10
; %bb.9:
	ds_read_b32 v4, v3
	v_and_b32_e32 v6, 15, v2
	v_cmp_ne_u32_e32 vcc, 15, v6
	v_addc_co_u32_e32 v7, vcc, 0, v2, vcc
	v_lshlrev_b32_e32 v7, 2, v7
	s_waitcnt lgkmcnt(0)
	ds_bpermute_b32 v7, v7, v4
	v_add_u32_e32 v8, 63, v5
	v_lshrrev_b32_e32 v8, 6, v8
	v_add_u32_e32 v9, 1, v6
	v_cmp_gt_u32_e64 s[2:3], 14, v6
	s_waitcnt lgkmcnt(0)
	v_add_f32_e32 v7, v4, v7
	v_cmp_lt_u32_e32 vcc, v9, v8
	v_cndmask_b32_e64 v9, 0, 2, s[2:3]
	v_cndmask_b32_e32 v7, v4, v7, vcc
	v_add_lshl_u32 v9, v9, v2, 2
	ds_bpermute_b32 v9, v9, v7
	v_add_u32_e32 v10, 2, v6
	v_cmp_lt_u32_e64 s[2:3], v10, v8
	v_or_b32_e32 v3, 32, v3
	s_waitcnt lgkmcnt(0)
	v_add_f32_e32 v9, v7, v9
	v_cndmask_b32_e64 v7, v7, v9, s[2:3]
	v_cmp_gt_u32_e64 s[2:3], 12, v6
	v_cndmask_b32_e64 v9, 0, 4, s[2:3]
	v_add_lshl_u32 v2, v9, v2, 2
	ds_bpermute_b32 v2, v2, v7
	v_add_u32_e32 v9, 4, v6
	v_cmp_lt_u32_e64 s[2:3], v9, v8
	v_add_u32_e32 v6, 8, v6
	s_waitcnt lgkmcnt(0)
	v_add_f32_e32 v2, v7, v2
	v_cndmask_b32_e64 v2, v7, v2, s[2:3]
	ds_bpermute_b32 v3, v3, v2
	v_cmp_lt_u32_e64 s[2:3], v6, v8
	s_waitcnt lgkmcnt(0)
	v_add_f32_e32 v3, v2, v3
	v_cndmask_b32_e64 v2, v2, v3, s[2:3]
	v_cndmask_b32_e32 v4, v4, v2, vcc
.LBB1_10:
	s_or_b64 exec, exec, s[6:7]
	v_cmp_eq_u32_e32 vcc, 0, v0
	s_and_saveexec_b64 s[2:3], vcc
	s_cbranch_execz .LBB1_12
; %bb.11:
	v_cvt_f32_i32_e32 v2, s20
	s_load_dword s4, s[4:5], 0x28
	s_mov_b32 s5, 0x800000
	v_div_scale_f32 v3, s[6:7], v2, v2, v4
	v_div_scale_f32 v6, vcc, v4, v2, v4
	v_rcp_f32_e32 v7, v3
	v_fma_f32 v8, -v3, v7, 1.0
	v_fmac_f32_e32 v7, v8, v7
	v_mul_f32_e32 v8, v6, v7
	v_fma_f32 v9, -v3, v8, v6
	v_fmac_f32_e32 v8, v9, v7
	v_fma_f32 v3, -v3, v8, v6
	v_div_fmas_f32 v3, v3, v7, v8
	v_div_fixup_f32 v2, v3, v2, v4
	s_waitcnt lgkmcnt(0)
	v_add_f32_e32 v2, s4, v2
	v_mul_f32_e32 v3, 0x4b800000, v2
	v_cmp_gt_f32_e32 vcc, s5, v2
	v_cndmask_b32_e32 v2, v2, v3, vcc
	v_rsq_f32_e32 v2, v2
	v_mul_f32_e32 v3, 0x45800000, v2
	v_cndmask_b32_e32 v2, v2, v3, vcc
	v_mov_b32_e32 v3, 0
	ds_write_b32 v3, v2 offset:64
.LBB1_12:
	s_or_b64 exec, exec, s[2:3]
	s_waitcnt lgkmcnt(0)
	s_barrier
	s_and_saveexec_b64 s[2:3], s[0:1]
	s_cbranch_execz .LBB1_27
; %bb.13:
	s_load_dword s10, s[10:11], 0x0
	s_mov_b64 s[2:3], 0
	v_mov_b32_e32 v8, s13
	v_mov_b32_e32 v9, s9
	s_mov_b64 s[4:5], 0x7f800000
	s_waitcnt lgkmcnt(0)
	v_div_scale_f32 v2, s[0:1], s10, s10, 1.0
	v_div_scale_f32 v3, vcc, 1.0, s10, 1.0
	s_mov_b64 s[6:7], 0x43700001
	s_movk_i32 s9, 0x78
	s_movk_i32 s13, 0x80
	;; [unrolled: 1-line block ×3, first 2 shown]
	v_mov_b32_e32 v11, 0x77
	v_mov_b32_e32 v13, 0xffffff8a
	v_rcp_f32_e32 v4, v2
	v_fma_f32 v6, -v2, v4, 1.0
	v_fmac_f32_e32 v4, v6, v4
	v_mul_f32_e32 v6, v3, v4
	v_fma_f32 v7, -v2, v6, v3
	v_fmac_f32_e32 v6, v7, v4
	v_fma_f32 v2, -v2, v6, v3
	v_div_fmas_f32 v3, v2, v4, v6
	v_mov_b32_e32 v2, 0
	ds_read_b32 v10, v2 offset:64
	v_mul_lo_u32 v6, s18, v1
	v_mul_lo_u32 v7, s20, v1
	v_div_fixup_f32 v12, v3, s10, 1.0
	s_branch .LBB1_16
.LBB1_14:                               ;   in Loop: Header=BB1_16 Depth=1
	s_or_b64 exec, exec, s[0:1]
.LBB1_15:                               ;   in Loop: Header=BB1_16 Depth=1
	s_or_b64 exec, exec, s[10:11]
	v_add_u32_e32 v3, v7, v0
	v_add_u32_e32 v0, v0, v5
	v_cmp_le_i32_e32 vcc, s20, v0
	s_or_b64 s[2:3], vcc, s[2:3]
	global_store_byte v3, v1, s[14:15]
	s_andn2_b64 exec, exec, s[2:3]
	s_cbranch_execz .LBB1_27
.LBB1_16:                               ; =>This Inner Loop Header: Depth=1
	v_add_u32_e32 v1, v6, v0
	v_lshlrev_b64 v[3:4], 2, v[1:2]
	v_ashrrev_i32_e32 v1, 31, v0
	v_add_co_u32_e32 v3, vcc, s12, v3
	v_addc_co_u32_e32 v4, vcc, v8, v4, vcc
	global_load_dword v14, v[3:4], off
	v_lshlrev_b64 v[3:4], 2, v[0:1]
	v_add_co_u32_e32 v3, vcc, s8, v3
	v_addc_co_u32_e32 v4, vcc, v9, v4, vcc
	global_load_dword v1, v[3:4], off
	s_waitcnt vmcnt(1) lgkmcnt(0)
	v_mul_f32_e32 v3, v14, v10
	s_waitcnt vmcnt(0)
	v_mul_f32_e32 v1, v3, v1
	v_mul_f32_e32 v1, v12, v1
	v_min_f32_e32 v1, 0x43600000, v1
	v_max_f32_e32 v14, 0xc3600000, v1
	v_and_b32_e32 v1, 0x7f800000, v14
	v_cmp_ne_u64_e32 vcc, s[4:5], v[1:2]
	v_mov_b32_e32 v1, 0x80
	s_and_saveexec_b64 s[10:11], vcc
	s_cbranch_execz .LBB1_15
; %bb.17:                               ;   in Loop: Header=BB1_16 Depth=1
	v_and_b32_e32 v1, 0x7fffffff, v14
	v_cmp_gt_u64_e32 vcc, s[6:7], v[1:2]
                                        ; implicit-def: $vgpr1
	s_and_saveexec_b64 s[0:1], vcc
	s_xor_b64 s[16:17], exec, s[0:1]
	s_cbranch_execz .LBB1_25
; %bb.18:                               ;   in Loop: Header=BB1_16 Depth=1
	v_cmp_ne_u32_e32 vcc, 0, v14
	v_mov_b32_e32 v1, 0
	s_and_saveexec_b64 s[18:19], vcc
	s_cbranch_execz .LBB1_24
; %bb.19:                               ;   in Loop: Header=BB1_16 Depth=1
	v_bfe_u32 v17, v14, 23, 8
	v_sub_u32_e64 v3, s9, v17 clamp
	v_cmp_eq_u32_e32 vcc, 0, v17
	v_and_b32_e32 v1, 0x7fffff, v14
	v_cndmask_b32_e32 v18, v3, v11, vcc
	v_or_b32_e32 v15, 0x800000, v1
	v_add_u32_e32 v3, 20, v18
	v_lshlrev_b64 v[3:4], v3, -1
	v_cndmask_b32_e32 v1, v15, v1, vcc
	v_add_u32_e32 v15, 19, v18
	v_lshlrev_b64 v[15:16], v15, 1
	v_bfi_b32 v4, v4, 0, 0
	v_bfi_b32 v3, v3, 0, v1
	v_cmp_eq_u64_e64 s[0:1], v[3:4], v[15:16]
	v_lshrrev_b64 v[3:4], v18, v[1:2]
	v_add_u32_e32 v1, 0xffffff89, v17
	v_cndmask_b32_e32 v1, v1, v13, vcc
	v_lshrrev_b32_e32 v4, 23, v3
	v_add3_u32 v16, v1, v18, v4
	v_and_b32_e32 v1, 0x100000, v3
	v_cmp_eq_u64_e32 vcc, 0, v[1:2]
	v_add_u32_e32 v17, -1, v16
	s_and_b64 vcc, vcc, s[0:1]
	v_subbrev_co_u32_e32 v1, vcc, 0, v3, vcc
	v_and_b32_e32 v1, 0xfffff, v1
	v_add_u32_e32 v1, v1, v3
	v_cmp_ne_u32_e32 vcc, 0, v17
                                        ; implicit-def: $vgpr3_vgpr4
                                        ; implicit-def: $vgpr15
	s_and_saveexec_b64 s[0:1], vcc
	s_xor_b64 s[0:1], exec, s[0:1]
; %bb.20:                               ;   in Loop: Header=BB1_16 Depth=1
	v_and_b32_e32 v18, 0x1000000, v1
	v_mov_b32_e32 v19, v2
	v_cmp_eq_u64_e32 vcc, 0, v[18:19]
	v_bfe_u32 v3, v1, 24, 1
	v_lshrrev_b64 v[3:4], v3, v[1:2]
	v_cndmask_b32_e32 v15, v16, v17, vcc
; %bb.21:                               ;   in Loop: Header=BB1_16 Depth=1
	s_andn2_saveexec_b64 s[0:1], s[0:1]
; %bb.22:                               ;   in Loop: Header=BB1_16 Depth=1
	v_mov_b32_e32 v4, v2
	v_bfe_u32 v15, v1, 23, 1
	v_mov_b32_e32 v3, v1
; %bb.23:                               ;   in Loop: Header=BB1_16 Depth=1
	s_or_b64 exec, exec, s[0:1]
	v_lshrrev_b64 v[3:4], 20, v[3:4]
	v_cmp_gt_i32_e32 vcc, 16, v15
	v_cndmask_b32_e32 v4, 0, v4, vcc
	v_cndmask_b32_e32 v3, 7, v3, vcc
	v_and_b32_sdwa v1, v14, s13 dst_sel:DWORD dst_unused:UNUSED_PAD src0_sel:BYTE_3 src1_sel:DWORD
	v_min_i32_e32 v14, 15, v15
	v_cmp_eq_u64_e64 s[0:1], 0, v[3:4]
	v_cmp_eq_u32_e32 vcc, 0, v15
	v_lshl_or_b32 v1, v14, 3, v1
	v_and_or_b32 v1, v3, 7, v1
	s_and_b64 s[0:1], vcc, s[0:1]
	v_cndmask_b32_e64 v1, v1, 0, s[0:1]
.LBB1_24:                               ;   in Loop: Header=BB1_16 Depth=1
	s_or_b64 exec, exec, s[18:19]
                                        ; implicit-def: $vgpr14
.LBB1_25:                               ;   in Loop: Header=BB1_16 Depth=1
	s_andn2_saveexec_b64 s[0:1], s[16:17]
	s_cbranch_execz .LBB1_14
; %bb.26:                               ;   in Loop: Header=BB1_16 Depth=1
	v_or_b32_sdwa v1, v14, s21 dst_sel:DWORD dst_unused:UNUSED_PAD src0_sel:BYTE_3 src1_sel:DWORD
	s_branch .LBB1_14
.LBB1_27:
	s_endpgm
	.section	.rodata,"a",@progbits
	.p2align	6, 0x0
	.amdhsa_kernel _ZN4vllm32rms_norm_static_fp8_quant_kernelIfN3c1015Float8_e4m3fnuzEEEvPT0_PKT_iS7_PKffii
		.amdhsa_group_segment_fixed_size 68
		.amdhsa_private_segment_fixed_size 0
		.amdhsa_kernarg_size 312
		.amdhsa_user_sgpr_count 6
		.amdhsa_user_sgpr_private_segment_buffer 1
		.amdhsa_user_sgpr_dispatch_ptr 0
		.amdhsa_user_sgpr_queue_ptr 0
		.amdhsa_user_sgpr_kernarg_segment_ptr 1
		.amdhsa_user_sgpr_dispatch_id 0
		.amdhsa_user_sgpr_flat_scratch_init 0
		.amdhsa_user_sgpr_private_segment_size 0
		.amdhsa_uses_dynamic_stack 0
		.amdhsa_system_sgpr_private_segment_wavefront_offset 0
		.amdhsa_system_sgpr_workgroup_id_x 1
		.amdhsa_system_sgpr_workgroup_id_y 0
		.amdhsa_system_sgpr_workgroup_id_z 0
		.amdhsa_system_sgpr_workgroup_info 0
		.amdhsa_system_vgpr_workitem_id 0
		.amdhsa_next_free_vgpr 20
		.amdhsa_next_free_sgpr 22
		.amdhsa_reserve_vcc 1
		.amdhsa_reserve_flat_scratch 0
		.amdhsa_float_round_mode_32 0
		.amdhsa_float_round_mode_16_64 0
		.amdhsa_float_denorm_mode_32 3
		.amdhsa_float_denorm_mode_16_64 3
		.amdhsa_dx10_clamp 1
		.amdhsa_ieee_mode 1
		.amdhsa_fp16_overflow 0
		.amdhsa_exception_fp_ieee_invalid_op 0
		.amdhsa_exception_fp_denorm_src 0
		.amdhsa_exception_fp_ieee_div_zero 0
		.amdhsa_exception_fp_ieee_overflow 0
		.amdhsa_exception_fp_ieee_underflow 0
		.amdhsa_exception_fp_ieee_inexact 0
		.amdhsa_exception_int_div_zero 0
	.end_amdhsa_kernel
	.section	.text._ZN4vllm32rms_norm_static_fp8_quant_kernelIfN3c1015Float8_e4m3fnuzEEEvPT0_PKT_iS7_PKffii,"axG",@progbits,_ZN4vllm32rms_norm_static_fp8_quant_kernelIfN3c1015Float8_e4m3fnuzEEEvPT0_PKT_iS7_PKffii,comdat
.Lfunc_end1:
	.size	_ZN4vllm32rms_norm_static_fp8_quant_kernelIfN3c1015Float8_e4m3fnuzEEEvPT0_PKT_iS7_PKffii, .Lfunc_end1-_ZN4vllm32rms_norm_static_fp8_quant_kernelIfN3c1015Float8_e4m3fnuzEEEvPT0_PKT_iS7_PKffii
                                        ; -- End function
	.set _ZN4vllm32rms_norm_static_fp8_quant_kernelIfN3c1015Float8_e4m3fnuzEEEvPT0_PKT_iS7_PKffii.num_vgpr, 20
	.set _ZN4vllm32rms_norm_static_fp8_quant_kernelIfN3c1015Float8_e4m3fnuzEEEvPT0_PKT_iS7_PKffii.num_agpr, 0
	.set _ZN4vllm32rms_norm_static_fp8_quant_kernelIfN3c1015Float8_e4m3fnuzEEEvPT0_PKT_iS7_PKffii.numbered_sgpr, 22
	.set _ZN4vllm32rms_norm_static_fp8_quant_kernelIfN3c1015Float8_e4m3fnuzEEEvPT0_PKT_iS7_PKffii.num_named_barrier, 0
	.set _ZN4vllm32rms_norm_static_fp8_quant_kernelIfN3c1015Float8_e4m3fnuzEEEvPT0_PKT_iS7_PKffii.private_seg_size, 0
	.set _ZN4vllm32rms_norm_static_fp8_quant_kernelIfN3c1015Float8_e4m3fnuzEEEvPT0_PKT_iS7_PKffii.uses_vcc, 1
	.set _ZN4vllm32rms_norm_static_fp8_quant_kernelIfN3c1015Float8_e4m3fnuzEEEvPT0_PKT_iS7_PKffii.uses_flat_scratch, 0
	.set _ZN4vllm32rms_norm_static_fp8_quant_kernelIfN3c1015Float8_e4m3fnuzEEEvPT0_PKT_iS7_PKffii.has_dyn_sized_stack, 0
	.set _ZN4vllm32rms_norm_static_fp8_quant_kernelIfN3c1015Float8_e4m3fnuzEEEvPT0_PKT_iS7_PKffii.has_recursion, 0
	.set _ZN4vllm32rms_norm_static_fp8_quant_kernelIfN3c1015Float8_e4m3fnuzEEEvPT0_PKT_iS7_PKffii.has_indirect_call, 0
	.section	.AMDGPU.csdata,"",@progbits
; Kernel info:
; codeLenInByte = 1696
; TotalNumSgprs: 26
; NumVgprs: 20
; ScratchSize: 0
; MemoryBound: 0
; FloatMode: 240
; IeeeMode: 1
; LDSByteSize: 68 bytes/workgroup (compile time only)
; SGPRBlocks: 3
; VGPRBlocks: 4
; NumSGPRsForWavesPerEU: 26
; NumVGPRsForWavesPerEU: 20
; Occupancy: 10
; WaveLimiterHint : 0
; COMPUTE_PGM_RSRC2:SCRATCH_EN: 0
; COMPUTE_PGM_RSRC2:USER_SGPR: 6
; COMPUTE_PGM_RSRC2:TRAP_HANDLER: 0
; COMPUTE_PGM_RSRC2:TGID_X_EN: 1
; COMPUTE_PGM_RSRC2:TGID_Y_EN: 0
; COMPUTE_PGM_RSRC2:TGID_Z_EN: 0
; COMPUTE_PGM_RSRC2:TIDIG_COMP_CNT: 0
	.section	.text._ZN4vllm32rms_norm_static_fp8_quant_kernelIN3c104HalfENS1_13Float8_e4m3fnEEEvPT0_PKT_iS8_PKffii,"axG",@progbits,_ZN4vllm32rms_norm_static_fp8_quant_kernelIN3c104HalfENS1_13Float8_e4m3fnEEEvPT0_PKT_iS8_PKffii,comdat
	.protected	_ZN4vllm32rms_norm_static_fp8_quant_kernelIN3c104HalfENS1_13Float8_e4m3fnEEEvPT0_PKT_iS8_PKffii ; -- Begin function _ZN4vllm32rms_norm_static_fp8_quant_kernelIN3c104HalfENS1_13Float8_e4m3fnEEEvPT0_PKT_iS8_PKffii
	.globl	_ZN4vllm32rms_norm_static_fp8_quant_kernelIN3c104HalfENS1_13Float8_e4m3fnEEEvPT0_PKT_iS8_PKffii
	.p2align	8
	.type	_ZN4vllm32rms_norm_static_fp8_quant_kernelIN3c104HalfENS1_13Float8_e4m3fnEEEvPT0_PKT_iS8_PKffii,@function
_ZN4vllm32rms_norm_static_fp8_quant_kernelIN3c104HalfENS1_13Float8_e4m3fnEEEvPT0_PKT_iS8_PKffii: ; @_ZN4vllm32rms_norm_static_fp8_quant_kernelIN3c104HalfENS1_13Float8_e4m3fnEEEvPT0_PKT_iS8_PKffii
; %bb.0:
	s_load_dword s20, s[4:5], 0x30
	s_load_dwordx2 s[12:13], s[4:5], 0x8
                                        ; implicit-def: $sgpr7
	s_waitcnt lgkmcnt(0)
	v_cmp_gt_i32_e64 s[0:1], s20, v0
	v_cmp_le_i32_e32 vcc, s20, v0
	s_and_saveexec_b64 s[2:3], vcc
	s_xor_b64 s[2:3], exec, s[2:3]
	s_cbranch_execz .LBB2_2
; %bb.1:
	s_load_dword s7, s[4:5], 0x44
	s_waitcnt lgkmcnt(0)
	s_and_b32 s7, s7, 0xffff
.LBB2_2:
	s_or_saveexec_b64 s[2:3], s[2:3]
	s_load_dwordx4 s[8:11], s[4:5], 0x18
	s_load_dwordx2 s[14:15], s[4:5], 0x0
	s_load_dword s18, s[4:5], 0x10
	v_mov_b32_e32 v3, 0
	v_mov_b32_e32 v1, s6
	;; [unrolled: 1-line block ×3, first 2 shown]
	s_xor_b64 exec, exec, s[2:3]
	s_cbranch_execz .LBB2_6
; %bb.3:
	s_load_dword s19, s[4:5], 0x44
	s_waitcnt lgkmcnt(0)
	s_mul_i32 s7, s18, s6
	v_mov_b32_e32 v2, 0
	s_mov_b64 s[16:17], 0
	v_mov_b32_e32 v4, s13
	s_and_b32 s19, s19, 0xffff
	v_mov_b32_e32 v3, 0
	v_mov_b32_e32 v5, v0
.LBB2_4:                                ; =>This Inner Loop Header: Depth=1
	v_add_u32_e32 v1, s7, v5
	v_lshlrev_b64 v[6:7], 1, v[1:2]
	v_add_u32_e32 v5, s19, v5
	v_add_co_u32_e32 v6, vcc, s12, v6
	v_addc_co_u32_e32 v7, vcc, v4, v7, vcc
	global_load_ushort v1, v[6:7], off
	v_cmp_le_i32_e32 vcc, s20, v5
	s_or_b64 s[16:17], vcc, s[16:17]
	s_waitcnt vmcnt(0)
	v_fma_mix_f32 v3, v1, v1, v3 op_sel_hi:[1,1,0]
	s_andn2_b64 exec, exec, s[16:17]
	s_cbranch_execnz .LBB2_4
; %bb.5:
	s_or_b64 exec, exec, s[16:17]
	v_mov_b32_e32 v1, s6
	v_mov_b32_e32 v5, s19
.LBB2_6:
	s_or_b64 exec, exec, s[2:3]
	v_mbcnt_lo_u32_b32 v2, -1, 0
	v_mbcnt_hi_u32_b32 v2, -1, v2
	v_and_b32_e32 v4, 63, v2
	v_cmp_ne_u32_e32 vcc, 63, v4
	v_addc_co_u32_e32 v6, vcc, 0, v2, vcc
	v_lshlrev_b32_e32 v6, 2, v6
	ds_bpermute_b32 v6, v6, v3
	v_and_b32_e32 v7, 0x3c0, v0
	v_sub_u32_e64 v7, v5, v7 clamp
	v_add_u32_e32 v8, 1, v2
	v_cmp_lt_u32_e32 vcc, v8, v7
	s_waitcnt lgkmcnt(0)
	v_add_f32_e32 v6, v3, v6
	v_cndmask_b32_e32 v3, v3, v6, vcc
	v_cmp_gt_u32_e32 vcc, 62, v4
	v_cndmask_b32_e64 v6, 0, 2, vcc
	v_add_lshl_u32 v6, v6, v2, 2
	ds_bpermute_b32 v6, v6, v3
	v_add_u32_e32 v8, 2, v2
	v_cmp_lt_u32_e32 vcc, v8, v7
	v_add_u32_e32 v8, 4, v2
	s_waitcnt lgkmcnt(0)
	v_add_f32_e32 v6, v3, v6
	v_cndmask_b32_e32 v3, v3, v6, vcc
	v_cmp_gt_u32_e32 vcc, 60, v4
	v_cndmask_b32_e64 v6, 0, 4, vcc
	v_add_lshl_u32 v6, v6, v2, 2
	ds_bpermute_b32 v6, v6, v3
	v_cmp_lt_u32_e32 vcc, v8, v7
	v_add_u32_e32 v8, 8, v2
	s_waitcnt lgkmcnt(0)
	v_add_f32_e32 v6, v3, v6
	v_cndmask_b32_e32 v3, v3, v6, vcc
	v_cmp_gt_u32_e32 vcc, 56, v4
	v_cndmask_b32_e64 v6, 0, 8, vcc
	v_add_lshl_u32 v6, v6, v2, 2
	ds_bpermute_b32 v6, v6, v3
	;; [unrolled: 9-line block ×3, first 2 shown]
	v_add_u32_e32 v6, 16, v2
	v_cmp_lt_u32_e32 vcc, v6, v7
	s_waitcnt lgkmcnt(0)
	v_add_f32_e32 v4, v3, v4
	v_cndmask_b32_e32 v4, v3, v4, vcc
	v_lshlrev_b32_e32 v3, 2, v2
	v_or_b32_e32 v6, 0x80, v3
	ds_bpermute_b32 v6, v6, v4
	v_cmp_lt_u32_e32 vcc, v8, v7
	s_waitcnt lgkmcnt(0)
	v_add_f32_e32 v6, v4, v6
	v_cndmask_b32_e32 v4, v4, v6, vcc
	v_cmp_eq_u32_e32 vcc, 0, v2
	s_and_saveexec_b64 s[2:3], vcc
; %bb.7:
	v_lshrrev_b32_e32 v6, 4, v0
	v_and_b32_e32 v6, 60, v6
	ds_write_b32 v6, v4
; %bb.8:
	s_or_b64 exec, exec, s[2:3]
	v_cmp_gt_u32_e32 vcc, 16, v0
	s_waitcnt lgkmcnt(0)
	s_barrier
	s_and_saveexec_b64 s[6:7], vcc
	s_cbranch_execz .LBB2_10
; %bb.9:
	ds_read_b32 v4, v3
	v_and_b32_e32 v6, 15, v2
	v_cmp_ne_u32_e32 vcc, 15, v6
	v_addc_co_u32_e32 v7, vcc, 0, v2, vcc
	v_lshlrev_b32_e32 v7, 2, v7
	s_waitcnt lgkmcnt(0)
	ds_bpermute_b32 v7, v7, v4
	v_add_u32_e32 v8, 63, v5
	v_lshrrev_b32_e32 v8, 6, v8
	v_add_u32_e32 v9, 1, v6
	v_cmp_gt_u32_e64 s[2:3], 14, v6
	s_waitcnt lgkmcnt(0)
	v_add_f32_e32 v7, v4, v7
	v_cmp_lt_u32_e32 vcc, v9, v8
	v_cndmask_b32_e64 v9, 0, 2, s[2:3]
	v_cndmask_b32_e32 v7, v4, v7, vcc
	v_add_lshl_u32 v9, v9, v2, 2
	ds_bpermute_b32 v9, v9, v7
	v_add_u32_e32 v10, 2, v6
	v_cmp_lt_u32_e64 s[2:3], v10, v8
	v_or_b32_e32 v3, 32, v3
	s_waitcnt lgkmcnt(0)
	v_add_f32_e32 v9, v7, v9
	v_cndmask_b32_e64 v7, v7, v9, s[2:3]
	v_cmp_gt_u32_e64 s[2:3], 12, v6
	v_cndmask_b32_e64 v9, 0, 4, s[2:3]
	v_add_lshl_u32 v2, v9, v2, 2
	ds_bpermute_b32 v2, v2, v7
	v_add_u32_e32 v9, 4, v6
	v_cmp_lt_u32_e64 s[2:3], v9, v8
	v_add_u32_e32 v6, 8, v6
	s_waitcnt lgkmcnt(0)
	v_add_f32_e32 v2, v7, v2
	v_cndmask_b32_e64 v2, v7, v2, s[2:3]
	ds_bpermute_b32 v3, v3, v2
	v_cmp_lt_u32_e64 s[2:3], v6, v8
	s_waitcnt lgkmcnt(0)
	v_add_f32_e32 v3, v2, v3
	v_cndmask_b32_e64 v2, v2, v3, s[2:3]
	v_cndmask_b32_e32 v4, v4, v2, vcc
.LBB2_10:
	s_or_b64 exec, exec, s[6:7]
	v_cmp_eq_u32_e32 vcc, 0, v0
	s_and_saveexec_b64 s[2:3], vcc
	s_cbranch_execz .LBB2_12
; %bb.11:
	v_cvt_f32_i32_e32 v2, s20
	s_load_dword s4, s[4:5], 0x28
	s_mov_b32 s5, 0x800000
	v_div_scale_f32 v3, s[6:7], v2, v2, v4
	v_div_scale_f32 v6, vcc, v4, v2, v4
	v_rcp_f32_e32 v7, v3
	v_fma_f32 v8, -v3, v7, 1.0
	v_fmac_f32_e32 v7, v8, v7
	v_mul_f32_e32 v8, v6, v7
	v_fma_f32 v9, -v3, v8, v6
	v_fmac_f32_e32 v8, v9, v7
	v_fma_f32 v3, -v3, v8, v6
	v_div_fmas_f32 v3, v3, v7, v8
	v_div_fixup_f32 v2, v3, v2, v4
	s_waitcnt lgkmcnt(0)
	v_add_f32_e32 v2, s4, v2
	v_mul_f32_e32 v3, 0x4b800000, v2
	v_cmp_gt_f32_e32 vcc, s5, v2
	v_cndmask_b32_e32 v2, v2, v3, vcc
	v_rsq_f32_e32 v2, v2
	v_mul_f32_e32 v3, 0x45800000, v2
	v_cndmask_b32_e32 v2, v2, v3, vcc
	v_mov_b32_e32 v3, 0
	ds_write_b32 v3, v2 offset:64
.LBB2_12:
	s_or_b64 exec, exec, s[2:3]
	s_waitcnt lgkmcnt(0)
	s_barrier
	s_and_saveexec_b64 s[2:3], s[0:1]
	s_cbranch_execz .LBB2_33
; %bb.13:
	s_load_dword s10, s[10:11], 0x0
	s_mov_b64 s[2:3], 0
	v_mov_b32_e32 v8, s13
	v_mov_b32_e32 v9, s9
	s_mov_b64 s[4:5], 0x7f800000
	s_waitcnt lgkmcnt(0)
	v_div_scale_f32 v2, s[0:1], s10, s10, 1.0
	v_div_scale_f32 v3, vcc, 1.0, s10, 1.0
	s_movk_i32 s9, 0x80
	s_mov_b64 s[6:7], 0x43e00001
	s_movk_i32 s13, 0x79
	s_movk_i32 s21, 0x7f
	v_mov_b32_e32 v11, 0x78
	v_mov_b32_e32 v13, 0xffffff89
	v_rcp_f32_e32 v4, v2
	v_fma_f32 v6, -v2, v4, 1.0
	v_fmac_f32_e32 v4, v6, v4
	v_mul_f32_e32 v6, v3, v4
	v_fma_f32 v7, -v2, v6, v3
	v_fmac_f32_e32 v6, v7, v4
	v_fma_f32 v2, -v2, v6, v3
	v_div_fmas_f32 v3, v2, v4, v6
	v_mov_b32_e32 v2, 0
	ds_read_b32 v10, v2 offset:64
	v_mul_lo_u32 v6, s18, v1
	v_mul_lo_u32 v7, s20, v1
	v_div_fixup_f32 v12, v3, s10, 1.0
	s_branch .LBB2_15
.LBB2_14:                               ;   in Loop: Header=BB2_15 Depth=1
	s_or_b64 exec, exec, s[0:1]
	v_add_u32_e32 v3, v7, v0
	v_add_u32_e32 v0, v0, v5
	v_cmp_le_i32_e32 vcc, s20, v0
	s_or_b64 s[2:3], vcc, s[2:3]
	global_store_byte v3, v1, s[14:15]
	s_andn2_b64 exec, exec, s[2:3]
	s_cbranch_execz .LBB2_33
.LBB2_15:                               ; =>This Inner Loop Header: Depth=1
	v_add_u32_e32 v1, v6, v0
	v_lshlrev_b64 v[3:4], 1, v[1:2]
	v_ashrrev_i32_e32 v1, 31, v0
	v_add_co_u32_e32 v3, vcc, s12, v3
	v_addc_co_u32_e32 v4, vcc, v8, v4, vcc
	global_load_ushort v14, v[3:4], off
	v_lshlrev_b64 v[3:4], 1, v[0:1]
	v_add_co_u32_e32 v3, vcc, s8, v3
	v_addc_co_u32_e32 v4, vcc, v9, v4, vcc
	global_load_ushort v1, v[3:4], off
	s_waitcnt vmcnt(1) lgkmcnt(0)
	v_fma_mixlo_f16 v3, v10, v14, 0 op_sel_hi:[0,1,0]
	s_waitcnt vmcnt(0)
	v_mul_f16_e32 v1, v1, v3
	v_cvt_f32_f16_e32 v1, v1
	v_mul_f32_e32 v1, v12, v1
	v_min_f32_e32 v1, 0x43e00000, v1
	v_max_f32_e32 v3, 0xc3e00000, v1
	v_and_b32_e32 v1, 0x7f800000, v3
	v_cmp_ne_u64_e32 vcc, s[4:5], v[1:2]
                                        ; implicit-def: $vgpr1
	s_and_saveexec_b64 s[0:1], vcc
	s_xor_b64 s[10:11], exec, s[0:1]
	s_cbranch_execz .LBB2_31
; %bb.16:                               ;   in Loop: Header=BB2_15 Depth=1
	v_and_b32_e32 v1, 0x7fffffff, v3
	v_cmp_gt_u64_e32 vcc, s[6:7], v[1:2]
	v_and_b32_sdwa v14, v3, s9 dst_sel:DWORD dst_unused:UNUSED_PAD src0_sel:BYTE_3 src1_sel:DWORD
                                        ; implicit-def: $vgpr1
	s_and_saveexec_b64 s[0:1], vcc
	s_xor_b64 s[16:17], exec, s[0:1]
	s_cbranch_execz .LBB2_28
; %bb.17:                               ;   in Loop: Header=BB2_15 Depth=1
	v_cmp_ne_u32_e32 vcc, 0, v3
	v_mov_b32_e32 v1, 0
	s_and_saveexec_b64 s[18:19], vcc
	s_cbranch_execz .LBB2_27
; %bb.18:                               ;   in Loop: Header=BB2_15 Depth=1
	v_bfe_u32 v17, v3, 23, 8
	v_and_b32_e32 v1, 0x7fffff, v3
	v_sub_u32_e64 v3, s13, v17 clamp
	v_cmp_eq_u32_e32 vcc, 0, v17
	v_cndmask_b32_e32 v18, v3, v11, vcc
	v_or_b32_e32 v15, 0x800000, v1
	v_add_u32_e32 v3, 20, v18
	v_lshlrev_b64 v[3:4], v3, -1
	v_cndmask_b32_e32 v1, v15, v1, vcc
	v_add_u32_e32 v15, 19, v18
	v_lshlrev_b64 v[15:16], v15, 1
	v_bfi_b32 v4, v4, 0, 0
	v_bfi_b32 v3, v3, 0, v1
	v_cmp_eq_u64_e64 s[0:1], v[3:4], v[15:16]
	v_lshrrev_b64 v[3:4], v18, v[1:2]
	v_add_u32_e32 v1, 0xffffff88, v17
	v_cndmask_b32_e32 v1, v1, v13, vcc
	v_lshrrev_b32_e32 v4, 23, v3
	v_add3_u32 v16, v1, v18, v4
	v_and_b32_e32 v1, 0x100000, v3
	v_cmp_eq_u64_e32 vcc, 0, v[1:2]
	v_add_u32_e32 v17, -1, v16
	s_and_b64 vcc, vcc, s[0:1]
	v_subbrev_co_u32_e32 v1, vcc, 0, v3, vcc
	v_and_b32_e32 v1, 0xfffff, v1
	v_add_u32_e32 v1, v1, v3
	v_cmp_ne_u32_e32 vcc, 0, v17
                                        ; implicit-def: $vgpr3_vgpr4
                                        ; implicit-def: $vgpr15
	s_and_saveexec_b64 s[0:1], vcc
	s_xor_b64 s[0:1], exec, s[0:1]
; %bb.19:                               ;   in Loop: Header=BB2_15 Depth=1
	v_and_b32_e32 v18, 0x1000000, v1
	v_mov_b32_e32 v19, v2
	v_cmp_eq_u64_e32 vcc, 0, v[18:19]
	v_bfe_u32 v3, v1, 24, 1
	v_lshrrev_b64 v[3:4], v3, v[1:2]
	v_cndmask_b32_e32 v15, v16, v17, vcc
; %bb.20:                               ;   in Loop: Header=BB2_15 Depth=1
	s_andn2_saveexec_b64 s[0:1], s[0:1]
; %bb.21:                               ;   in Loop: Header=BB2_15 Depth=1
	v_mov_b32_e32 v4, v2
	v_bfe_u32 v15, v1, 23, 1
	v_mov_b32_e32 v3, v1
; %bb.22:                               ;   in Loop: Header=BB2_15 Depth=1
	s_or_b64 exec, exec, s[0:1]
	v_lshrrev_b64 v[3:4], 20, v[3:4]
	v_cmp_gt_i32_e32 vcc, 16, v15
	v_cndmask_b32_e32 v4, 0, v4, vcc
	v_cndmask_b32_e32 v3, 7, v3, vcc
	v_cmp_ne_u64_e32 vcc, 0, v[3:4]
	v_cmp_ne_u32_e64 s[0:1], 0, v15
	s_or_b64 s[0:1], s[0:1], vcc
                                        ; implicit-def: $vgpr1
	s_and_saveexec_b64 s[22:23], s[0:1]
	s_xor_b64 s[0:1], exec, s[22:23]
; %bb.23:                               ;   in Loop: Header=BB2_15 Depth=1
	v_min_i32_e32 v1, 15, v15
	v_lshl_or_b32 v1, v1, 3, v14
	v_and_or_b32 v1, v3, 7, v1
                                        ; implicit-def: $vgpr14
; %bb.24:                               ;   in Loop: Header=BB2_15 Depth=1
	s_andn2_saveexec_b64 s[0:1], s[0:1]
; %bb.25:                               ;   in Loop: Header=BB2_15 Depth=1
	v_mov_b32_e32 v1, v14
; %bb.26:                               ;   in Loop: Header=BB2_15 Depth=1
	s_or_b64 exec, exec, s[0:1]
.LBB2_27:                               ;   in Loop: Header=BB2_15 Depth=1
	s_or_b64 exec, exec, s[18:19]
                                        ; implicit-def: $vgpr14
.LBB2_28:                               ;   in Loop: Header=BB2_15 Depth=1
	s_andn2_saveexec_b64 s[0:1], s[16:17]
; %bb.29:                               ;   in Loop: Header=BB2_15 Depth=1
	v_or_b32_e32 v1, 0x7e, v14
; %bb.30:                               ;   in Loop: Header=BB2_15 Depth=1
	s_or_b64 exec, exec, s[0:1]
                                        ; implicit-def: $vgpr3
.LBB2_31:                               ;   in Loop: Header=BB2_15 Depth=1
	s_andn2_saveexec_b64 s[0:1], s[10:11]
	s_cbranch_execz .LBB2_14
; %bb.32:                               ;   in Loop: Header=BB2_15 Depth=1
	v_or_b32_sdwa v1, v3, s21 dst_sel:DWORD dst_unused:UNUSED_PAD src0_sel:BYTE_3 src1_sel:DWORD
	s_branch .LBB2_14
.LBB2_33:
	s_endpgm
	.section	.rodata,"a",@progbits
	.p2align	6, 0x0
	.amdhsa_kernel _ZN4vllm32rms_norm_static_fp8_quant_kernelIN3c104HalfENS1_13Float8_e4m3fnEEEvPT0_PKT_iS8_PKffii
		.amdhsa_group_segment_fixed_size 68
		.amdhsa_private_segment_fixed_size 0
		.amdhsa_kernarg_size 312
		.amdhsa_user_sgpr_count 6
		.amdhsa_user_sgpr_private_segment_buffer 1
		.amdhsa_user_sgpr_dispatch_ptr 0
		.amdhsa_user_sgpr_queue_ptr 0
		.amdhsa_user_sgpr_kernarg_segment_ptr 1
		.amdhsa_user_sgpr_dispatch_id 0
		.amdhsa_user_sgpr_flat_scratch_init 0
		.amdhsa_user_sgpr_private_segment_size 0
		.amdhsa_uses_dynamic_stack 0
		.amdhsa_system_sgpr_private_segment_wavefront_offset 0
		.amdhsa_system_sgpr_workgroup_id_x 1
		.amdhsa_system_sgpr_workgroup_id_y 0
		.amdhsa_system_sgpr_workgroup_id_z 0
		.amdhsa_system_sgpr_workgroup_info 0
		.amdhsa_system_vgpr_workitem_id 0
		.amdhsa_next_free_vgpr 20
		.amdhsa_next_free_sgpr 24
		.amdhsa_reserve_vcc 1
		.amdhsa_reserve_flat_scratch 0
		.amdhsa_float_round_mode_32 0
		.amdhsa_float_round_mode_16_64 0
		.amdhsa_float_denorm_mode_32 3
		.amdhsa_float_denorm_mode_16_64 3
		.amdhsa_dx10_clamp 1
		.amdhsa_ieee_mode 1
		.amdhsa_fp16_overflow 0
		.amdhsa_exception_fp_ieee_invalid_op 0
		.amdhsa_exception_fp_denorm_src 0
		.amdhsa_exception_fp_ieee_div_zero 0
		.amdhsa_exception_fp_ieee_overflow 0
		.amdhsa_exception_fp_ieee_underflow 0
		.amdhsa_exception_fp_ieee_inexact 0
		.amdhsa_exception_int_div_zero 0
	.end_amdhsa_kernel
	.section	.text._ZN4vllm32rms_norm_static_fp8_quant_kernelIN3c104HalfENS1_13Float8_e4m3fnEEEvPT0_PKT_iS8_PKffii,"axG",@progbits,_ZN4vllm32rms_norm_static_fp8_quant_kernelIN3c104HalfENS1_13Float8_e4m3fnEEEvPT0_PKT_iS8_PKffii,comdat
.Lfunc_end2:
	.size	_ZN4vllm32rms_norm_static_fp8_quant_kernelIN3c104HalfENS1_13Float8_e4m3fnEEEvPT0_PKT_iS8_PKffii, .Lfunc_end2-_ZN4vllm32rms_norm_static_fp8_quant_kernelIN3c104HalfENS1_13Float8_e4m3fnEEEvPT0_PKT_iS8_PKffii
                                        ; -- End function
	.set _ZN4vllm32rms_norm_static_fp8_quant_kernelIN3c104HalfENS1_13Float8_e4m3fnEEEvPT0_PKT_iS8_PKffii.num_vgpr, 20
	.set _ZN4vllm32rms_norm_static_fp8_quant_kernelIN3c104HalfENS1_13Float8_e4m3fnEEEvPT0_PKT_iS8_PKffii.num_agpr, 0
	.set _ZN4vllm32rms_norm_static_fp8_quant_kernelIN3c104HalfENS1_13Float8_e4m3fnEEEvPT0_PKT_iS8_PKffii.numbered_sgpr, 24
	.set _ZN4vllm32rms_norm_static_fp8_quant_kernelIN3c104HalfENS1_13Float8_e4m3fnEEEvPT0_PKT_iS8_PKffii.num_named_barrier, 0
	.set _ZN4vllm32rms_norm_static_fp8_quant_kernelIN3c104HalfENS1_13Float8_e4m3fnEEEvPT0_PKT_iS8_PKffii.private_seg_size, 0
	.set _ZN4vllm32rms_norm_static_fp8_quant_kernelIN3c104HalfENS1_13Float8_e4m3fnEEEvPT0_PKT_iS8_PKffii.uses_vcc, 1
	.set _ZN4vllm32rms_norm_static_fp8_quant_kernelIN3c104HalfENS1_13Float8_e4m3fnEEEvPT0_PKT_iS8_PKffii.uses_flat_scratch, 0
	.set _ZN4vllm32rms_norm_static_fp8_quant_kernelIN3c104HalfENS1_13Float8_e4m3fnEEEvPT0_PKT_iS8_PKffii.has_dyn_sized_stack, 0
	.set _ZN4vllm32rms_norm_static_fp8_quant_kernelIN3c104HalfENS1_13Float8_e4m3fnEEEvPT0_PKT_iS8_PKffii.has_recursion, 0
	.set _ZN4vllm32rms_norm_static_fp8_quant_kernelIN3c104HalfENS1_13Float8_e4m3fnEEEvPT0_PKT_iS8_PKffii.has_indirect_call, 0
	.section	.AMDGPU.csdata,"",@progbits
; Kernel info:
; codeLenInByte = 1728
; TotalNumSgprs: 28
; NumVgprs: 20
; ScratchSize: 0
; MemoryBound: 0
; FloatMode: 240
; IeeeMode: 1
; LDSByteSize: 68 bytes/workgroup (compile time only)
; SGPRBlocks: 3
; VGPRBlocks: 4
; NumSGPRsForWavesPerEU: 28
; NumVGPRsForWavesPerEU: 20
; Occupancy: 10
; WaveLimiterHint : 0
; COMPUTE_PGM_RSRC2:SCRATCH_EN: 0
; COMPUTE_PGM_RSRC2:USER_SGPR: 6
; COMPUTE_PGM_RSRC2:TRAP_HANDLER: 0
; COMPUTE_PGM_RSRC2:TGID_X_EN: 1
; COMPUTE_PGM_RSRC2:TGID_Y_EN: 0
; COMPUTE_PGM_RSRC2:TGID_Z_EN: 0
; COMPUTE_PGM_RSRC2:TIDIG_COMP_CNT: 0
	.section	.text._ZN4vllm32rms_norm_static_fp8_quant_kernelIN3c104HalfENS1_15Float8_e4m3fnuzEEEvPT0_PKT_iS8_PKffii,"axG",@progbits,_ZN4vllm32rms_norm_static_fp8_quant_kernelIN3c104HalfENS1_15Float8_e4m3fnuzEEEvPT0_PKT_iS8_PKffii,comdat
	.protected	_ZN4vllm32rms_norm_static_fp8_quant_kernelIN3c104HalfENS1_15Float8_e4m3fnuzEEEvPT0_PKT_iS8_PKffii ; -- Begin function _ZN4vllm32rms_norm_static_fp8_quant_kernelIN3c104HalfENS1_15Float8_e4m3fnuzEEEvPT0_PKT_iS8_PKffii
	.globl	_ZN4vllm32rms_norm_static_fp8_quant_kernelIN3c104HalfENS1_15Float8_e4m3fnuzEEEvPT0_PKT_iS8_PKffii
	.p2align	8
	.type	_ZN4vllm32rms_norm_static_fp8_quant_kernelIN3c104HalfENS1_15Float8_e4m3fnuzEEEvPT0_PKT_iS8_PKffii,@function
_ZN4vllm32rms_norm_static_fp8_quant_kernelIN3c104HalfENS1_15Float8_e4m3fnuzEEEvPT0_PKT_iS8_PKffii: ; @_ZN4vllm32rms_norm_static_fp8_quant_kernelIN3c104HalfENS1_15Float8_e4m3fnuzEEEvPT0_PKT_iS8_PKffii
; %bb.0:
	s_load_dword s20, s[4:5], 0x30
	s_load_dwordx2 s[12:13], s[4:5], 0x8
                                        ; implicit-def: $sgpr7
	s_waitcnt lgkmcnt(0)
	v_cmp_gt_i32_e64 s[0:1], s20, v0
	v_cmp_le_i32_e32 vcc, s20, v0
	s_and_saveexec_b64 s[2:3], vcc
	s_xor_b64 s[2:3], exec, s[2:3]
	s_cbranch_execz .LBB3_2
; %bb.1:
	s_load_dword s7, s[4:5], 0x44
	s_waitcnt lgkmcnt(0)
	s_and_b32 s7, s7, 0xffff
.LBB3_2:
	s_or_saveexec_b64 s[2:3], s[2:3]
	s_load_dwordx4 s[8:11], s[4:5], 0x18
	s_load_dwordx2 s[14:15], s[4:5], 0x0
	s_load_dword s18, s[4:5], 0x10
	v_mov_b32_e32 v3, 0
	v_mov_b32_e32 v1, s6
	;; [unrolled: 1-line block ×3, first 2 shown]
	s_xor_b64 exec, exec, s[2:3]
	s_cbranch_execz .LBB3_6
; %bb.3:
	s_load_dword s19, s[4:5], 0x44
	s_waitcnt lgkmcnt(0)
	s_mul_i32 s7, s18, s6
	v_mov_b32_e32 v2, 0
	s_mov_b64 s[16:17], 0
	v_mov_b32_e32 v4, s13
	s_and_b32 s19, s19, 0xffff
	v_mov_b32_e32 v3, 0
	v_mov_b32_e32 v5, v0
.LBB3_4:                                ; =>This Inner Loop Header: Depth=1
	v_add_u32_e32 v1, s7, v5
	v_lshlrev_b64 v[6:7], 1, v[1:2]
	v_add_u32_e32 v5, s19, v5
	v_add_co_u32_e32 v6, vcc, s12, v6
	v_addc_co_u32_e32 v7, vcc, v4, v7, vcc
	global_load_ushort v1, v[6:7], off
	v_cmp_le_i32_e32 vcc, s20, v5
	s_or_b64 s[16:17], vcc, s[16:17]
	s_waitcnt vmcnt(0)
	v_fma_mix_f32 v3, v1, v1, v3 op_sel_hi:[1,1,0]
	s_andn2_b64 exec, exec, s[16:17]
	s_cbranch_execnz .LBB3_4
; %bb.5:
	s_or_b64 exec, exec, s[16:17]
	v_mov_b32_e32 v1, s6
	v_mov_b32_e32 v5, s19
.LBB3_6:
	s_or_b64 exec, exec, s[2:3]
	v_mbcnt_lo_u32_b32 v2, -1, 0
	v_mbcnt_hi_u32_b32 v2, -1, v2
	v_and_b32_e32 v4, 63, v2
	v_cmp_ne_u32_e32 vcc, 63, v4
	v_addc_co_u32_e32 v6, vcc, 0, v2, vcc
	v_lshlrev_b32_e32 v6, 2, v6
	ds_bpermute_b32 v6, v6, v3
	v_and_b32_e32 v7, 0x3c0, v0
	v_sub_u32_e64 v7, v5, v7 clamp
	v_add_u32_e32 v8, 1, v2
	v_cmp_lt_u32_e32 vcc, v8, v7
	s_waitcnt lgkmcnt(0)
	v_add_f32_e32 v6, v3, v6
	v_cndmask_b32_e32 v3, v3, v6, vcc
	v_cmp_gt_u32_e32 vcc, 62, v4
	v_cndmask_b32_e64 v6, 0, 2, vcc
	v_add_lshl_u32 v6, v6, v2, 2
	ds_bpermute_b32 v6, v6, v3
	v_add_u32_e32 v8, 2, v2
	v_cmp_lt_u32_e32 vcc, v8, v7
	v_add_u32_e32 v8, 4, v2
	s_waitcnt lgkmcnt(0)
	v_add_f32_e32 v6, v3, v6
	v_cndmask_b32_e32 v3, v3, v6, vcc
	v_cmp_gt_u32_e32 vcc, 60, v4
	v_cndmask_b32_e64 v6, 0, 4, vcc
	v_add_lshl_u32 v6, v6, v2, 2
	ds_bpermute_b32 v6, v6, v3
	v_cmp_lt_u32_e32 vcc, v8, v7
	v_add_u32_e32 v8, 8, v2
	s_waitcnt lgkmcnt(0)
	v_add_f32_e32 v6, v3, v6
	v_cndmask_b32_e32 v3, v3, v6, vcc
	v_cmp_gt_u32_e32 vcc, 56, v4
	v_cndmask_b32_e64 v6, 0, 8, vcc
	v_add_lshl_u32 v6, v6, v2, 2
	ds_bpermute_b32 v6, v6, v3
	;; [unrolled: 9-line block ×3, first 2 shown]
	v_add_u32_e32 v6, 16, v2
	v_cmp_lt_u32_e32 vcc, v6, v7
	s_waitcnt lgkmcnt(0)
	v_add_f32_e32 v4, v3, v4
	v_cndmask_b32_e32 v4, v3, v4, vcc
	v_lshlrev_b32_e32 v3, 2, v2
	v_or_b32_e32 v6, 0x80, v3
	ds_bpermute_b32 v6, v6, v4
	v_cmp_lt_u32_e32 vcc, v8, v7
	s_waitcnt lgkmcnt(0)
	v_add_f32_e32 v6, v4, v6
	v_cndmask_b32_e32 v4, v4, v6, vcc
	v_cmp_eq_u32_e32 vcc, 0, v2
	s_and_saveexec_b64 s[2:3], vcc
; %bb.7:
	v_lshrrev_b32_e32 v6, 4, v0
	v_and_b32_e32 v6, 60, v6
	ds_write_b32 v6, v4
; %bb.8:
	s_or_b64 exec, exec, s[2:3]
	v_cmp_gt_u32_e32 vcc, 16, v0
	s_waitcnt lgkmcnt(0)
	s_barrier
	s_and_saveexec_b64 s[6:7], vcc
	s_cbranch_execz .LBB3_10
; %bb.9:
	ds_read_b32 v4, v3
	v_and_b32_e32 v6, 15, v2
	v_cmp_ne_u32_e32 vcc, 15, v6
	v_addc_co_u32_e32 v7, vcc, 0, v2, vcc
	v_lshlrev_b32_e32 v7, 2, v7
	s_waitcnt lgkmcnt(0)
	ds_bpermute_b32 v7, v7, v4
	v_add_u32_e32 v8, 63, v5
	v_lshrrev_b32_e32 v8, 6, v8
	v_add_u32_e32 v9, 1, v6
	v_cmp_gt_u32_e64 s[2:3], 14, v6
	s_waitcnt lgkmcnt(0)
	v_add_f32_e32 v7, v4, v7
	v_cmp_lt_u32_e32 vcc, v9, v8
	v_cndmask_b32_e64 v9, 0, 2, s[2:3]
	v_cndmask_b32_e32 v7, v4, v7, vcc
	v_add_lshl_u32 v9, v9, v2, 2
	ds_bpermute_b32 v9, v9, v7
	v_add_u32_e32 v10, 2, v6
	v_cmp_lt_u32_e64 s[2:3], v10, v8
	v_or_b32_e32 v3, 32, v3
	s_waitcnt lgkmcnt(0)
	v_add_f32_e32 v9, v7, v9
	v_cndmask_b32_e64 v7, v7, v9, s[2:3]
	v_cmp_gt_u32_e64 s[2:3], 12, v6
	v_cndmask_b32_e64 v9, 0, 4, s[2:3]
	v_add_lshl_u32 v2, v9, v2, 2
	ds_bpermute_b32 v2, v2, v7
	v_add_u32_e32 v9, 4, v6
	v_cmp_lt_u32_e64 s[2:3], v9, v8
	v_add_u32_e32 v6, 8, v6
	s_waitcnt lgkmcnt(0)
	v_add_f32_e32 v2, v7, v2
	v_cndmask_b32_e64 v2, v7, v2, s[2:3]
	ds_bpermute_b32 v3, v3, v2
	v_cmp_lt_u32_e64 s[2:3], v6, v8
	s_waitcnt lgkmcnt(0)
	v_add_f32_e32 v3, v2, v3
	v_cndmask_b32_e64 v2, v2, v3, s[2:3]
	v_cndmask_b32_e32 v4, v4, v2, vcc
.LBB3_10:
	s_or_b64 exec, exec, s[6:7]
	v_cmp_eq_u32_e32 vcc, 0, v0
	s_and_saveexec_b64 s[2:3], vcc
	s_cbranch_execz .LBB3_12
; %bb.11:
	v_cvt_f32_i32_e32 v2, s20
	s_load_dword s4, s[4:5], 0x28
	s_mov_b32 s5, 0x800000
	v_div_scale_f32 v3, s[6:7], v2, v2, v4
	v_div_scale_f32 v6, vcc, v4, v2, v4
	v_rcp_f32_e32 v7, v3
	v_fma_f32 v8, -v3, v7, 1.0
	v_fmac_f32_e32 v7, v8, v7
	v_mul_f32_e32 v8, v6, v7
	v_fma_f32 v9, -v3, v8, v6
	v_fmac_f32_e32 v8, v9, v7
	v_fma_f32 v3, -v3, v8, v6
	v_div_fmas_f32 v3, v3, v7, v8
	v_div_fixup_f32 v2, v3, v2, v4
	s_waitcnt lgkmcnt(0)
	v_add_f32_e32 v2, s4, v2
	v_mul_f32_e32 v3, 0x4b800000, v2
	v_cmp_gt_f32_e32 vcc, s5, v2
	v_cndmask_b32_e32 v2, v2, v3, vcc
	v_rsq_f32_e32 v2, v2
	v_mul_f32_e32 v3, 0x45800000, v2
	v_cndmask_b32_e32 v2, v2, v3, vcc
	v_mov_b32_e32 v3, 0
	ds_write_b32 v3, v2 offset:64
.LBB3_12:
	s_or_b64 exec, exec, s[2:3]
	s_waitcnt lgkmcnt(0)
	s_barrier
	s_and_saveexec_b64 s[2:3], s[0:1]
	s_cbranch_execz .LBB3_27
; %bb.13:
	s_load_dword s10, s[10:11], 0x0
	s_mov_b64 s[2:3], 0
	v_mov_b32_e32 v8, s13
	v_mov_b32_e32 v9, s9
	s_mov_b64 s[4:5], 0x7f800000
	s_waitcnt lgkmcnt(0)
	v_div_scale_f32 v2, s[0:1], s10, s10, 1.0
	v_div_scale_f32 v3, vcc, 1.0, s10, 1.0
	s_mov_b64 s[6:7], 0x43700001
	s_movk_i32 s9, 0x78
	s_movk_i32 s13, 0x80
	;; [unrolled: 1-line block ×3, first 2 shown]
	v_mov_b32_e32 v11, 0x77
	v_mov_b32_e32 v13, 0xffffff8a
	v_rcp_f32_e32 v4, v2
	v_fma_f32 v6, -v2, v4, 1.0
	v_fmac_f32_e32 v4, v6, v4
	v_mul_f32_e32 v6, v3, v4
	v_fma_f32 v7, -v2, v6, v3
	v_fmac_f32_e32 v6, v7, v4
	v_fma_f32 v2, -v2, v6, v3
	v_div_fmas_f32 v3, v2, v4, v6
	v_mov_b32_e32 v2, 0
	ds_read_b32 v10, v2 offset:64
	v_mul_lo_u32 v6, s18, v1
	v_mul_lo_u32 v7, s20, v1
	v_div_fixup_f32 v12, v3, s10, 1.0
	s_branch .LBB3_16
.LBB3_14:                               ;   in Loop: Header=BB3_16 Depth=1
	s_or_b64 exec, exec, s[0:1]
.LBB3_15:                               ;   in Loop: Header=BB3_16 Depth=1
	s_or_b64 exec, exec, s[10:11]
	v_add_u32_e32 v3, v7, v0
	v_add_u32_e32 v0, v0, v5
	v_cmp_le_i32_e32 vcc, s20, v0
	s_or_b64 s[2:3], vcc, s[2:3]
	global_store_byte v3, v1, s[14:15]
	s_andn2_b64 exec, exec, s[2:3]
	s_cbranch_execz .LBB3_27
.LBB3_16:                               ; =>This Inner Loop Header: Depth=1
	v_add_u32_e32 v1, v6, v0
	v_lshlrev_b64 v[3:4], 1, v[1:2]
	v_ashrrev_i32_e32 v1, 31, v0
	v_add_co_u32_e32 v3, vcc, s12, v3
	v_addc_co_u32_e32 v4, vcc, v8, v4, vcc
	global_load_ushort v14, v[3:4], off
	v_lshlrev_b64 v[3:4], 1, v[0:1]
	v_add_co_u32_e32 v3, vcc, s8, v3
	v_addc_co_u32_e32 v4, vcc, v9, v4, vcc
	global_load_ushort v1, v[3:4], off
	s_waitcnt vmcnt(1) lgkmcnt(0)
	v_fma_mixlo_f16 v3, v10, v14, 0 op_sel_hi:[0,1,0]
	s_waitcnt vmcnt(0)
	v_mul_f16_e32 v1, v1, v3
	v_cvt_f32_f16_e32 v1, v1
	v_mul_f32_e32 v1, v12, v1
	v_min_f32_e32 v1, 0x43600000, v1
	v_max_f32_e32 v14, 0xc3600000, v1
	v_and_b32_e32 v1, 0x7f800000, v14
	v_cmp_ne_u64_e32 vcc, s[4:5], v[1:2]
	v_mov_b32_e32 v1, 0x80
	s_and_saveexec_b64 s[10:11], vcc
	s_cbranch_execz .LBB3_15
; %bb.17:                               ;   in Loop: Header=BB3_16 Depth=1
	v_and_b32_e32 v1, 0x7fffffff, v14
	v_cmp_gt_u64_e32 vcc, s[6:7], v[1:2]
                                        ; implicit-def: $vgpr1
	s_and_saveexec_b64 s[0:1], vcc
	s_xor_b64 s[16:17], exec, s[0:1]
	s_cbranch_execz .LBB3_25
; %bb.18:                               ;   in Loop: Header=BB3_16 Depth=1
	v_cmp_ne_u32_e32 vcc, 0, v14
	v_mov_b32_e32 v1, 0
	s_and_saveexec_b64 s[18:19], vcc
	s_cbranch_execz .LBB3_24
; %bb.19:                               ;   in Loop: Header=BB3_16 Depth=1
	v_bfe_u32 v17, v14, 23, 8
	v_sub_u32_e64 v3, s9, v17 clamp
	v_cmp_eq_u32_e32 vcc, 0, v17
	v_and_b32_e32 v1, 0x7fffff, v14
	v_cndmask_b32_e32 v18, v3, v11, vcc
	v_or_b32_e32 v15, 0x800000, v1
	v_add_u32_e32 v3, 20, v18
	v_lshlrev_b64 v[3:4], v3, -1
	v_cndmask_b32_e32 v1, v15, v1, vcc
	v_add_u32_e32 v15, 19, v18
	v_lshlrev_b64 v[15:16], v15, 1
	v_bfi_b32 v4, v4, 0, 0
	v_bfi_b32 v3, v3, 0, v1
	v_cmp_eq_u64_e64 s[0:1], v[3:4], v[15:16]
	v_lshrrev_b64 v[3:4], v18, v[1:2]
	v_add_u32_e32 v1, 0xffffff89, v17
	v_cndmask_b32_e32 v1, v1, v13, vcc
	v_lshrrev_b32_e32 v4, 23, v3
	v_add3_u32 v16, v1, v18, v4
	v_and_b32_e32 v1, 0x100000, v3
	v_cmp_eq_u64_e32 vcc, 0, v[1:2]
	v_add_u32_e32 v17, -1, v16
	s_and_b64 vcc, vcc, s[0:1]
	v_subbrev_co_u32_e32 v1, vcc, 0, v3, vcc
	v_and_b32_e32 v1, 0xfffff, v1
	v_add_u32_e32 v1, v1, v3
	v_cmp_ne_u32_e32 vcc, 0, v17
                                        ; implicit-def: $vgpr3_vgpr4
                                        ; implicit-def: $vgpr15
	s_and_saveexec_b64 s[0:1], vcc
	s_xor_b64 s[0:1], exec, s[0:1]
; %bb.20:                               ;   in Loop: Header=BB3_16 Depth=1
	v_and_b32_e32 v18, 0x1000000, v1
	v_mov_b32_e32 v19, v2
	v_cmp_eq_u64_e32 vcc, 0, v[18:19]
	v_bfe_u32 v3, v1, 24, 1
	v_lshrrev_b64 v[3:4], v3, v[1:2]
	v_cndmask_b32_e32 v15, v16, v17, vcc
; %bb.21:                               ;   in Loop: Header=BB3_16 Depth=1
	s_andn2_saveexec_b64 s[0:1], s[0:1]
; %bb.22:                               ;   in Loop: Header=BB3_16 Depth=1
	v_mov_b32_e32 v4, v2
	v_bfe_u32 v15, v1, 23, 1
	v_mov_b32_e32 v3, v1
; %bb.23:                               ;   in Loop: Header=BB3_16 Depth=1
	s_or_b64 exec, exec, s[0:1]
	v_lshrrev_b64 v[3:4], 20, v[3:4]
	v_cmp_gt_i32_e32 vcc, 16, v15
	v_cndmask_b32_e32 v4, 0, v4, vcc
	v_cndmask_b32_e32 v3, 7, v3, vcc
	v_and_b32_sdwa v1, v14, s13 dst_sel:DWORD dst_unused:UNUSED_PAD src0_sel:BYTE_3 src1_sel:DWORD
	v_min_i32_e32 v14, 15, v15
	v_cmp_eq_u64_e64 s[0:1], 0, v[3:4]
	v_cmp_eq_u32_e32 vcc, 0, v15
	v_lshl_or_b32 v1, v14, 3, v1
	v_and_or_b32 v1, v3, 7, v1
	s_and_b64 s[0:1], vcc, s[0:1]
	v_cndmask_b32_e64 v1, v1, 0, s[0:1]
.LBB3_24:                               ;   in Loop: Header=BB3_16 Depth=1
	s_or_b64 exec, exec, s[18:19]
                                        ; implicit-def: $vgpr14
.LBB3_25:                               ;   in Loop: Header=BB3_16 Depth=1
	s_andn2_saveexec_b64 s[0:1], s[16:17]
	s_cbranch_execz .LBB3_14
; %bb.26:                               ;   in Loop: Header=BB3_16 Depth=1
	v_or_b32_sdwa v1, v14, s21 dst_sel:DWORD dst_unused:UNUSED_PAD src0_sel:BYTE_3 src1_sel:DWORD
	s_branch .LBB3_14
.LBB3_27:
	s_endpgm
	.section	.rodata,"a",@progbits
	.p2align	6, 0x0
	.amdhsa_kernel _ZN4vllm32rms_norm_static_fp8_quant_kernelIN3c104HalfENS1_15Float8_e4m3fnuzEEEvPT0_PKT_iS8_PKffii
		.amdhsa_group_segment_fixed_size 68
		.amdhsa_private_segment_fixed_size 0
		.amdhsa_kernarg_size 312
		.amdhsa_user_sgpr_count 6
		.amdhsa_user_sgpr_private_segment_buffer 1
		.amdhsa_user_sgpr_dispatch_ptr 0
		.amdhsa_user_sgpr_queue_ptr 0
		.amdhsa_user_sgpr_kernarg_segment_ptr 1
		.amdhsa_user_sgpr_dispatch_id 0
		.amdhsa_user_sgpr_flat_scratch_init 0
		.amdhsa_user_sgpr_private_segment_size 0
		.amdhsa_uses_dynamic_stack 0
		.amdhsa_system_sgpr_private_segment_wavefront_offset 0
		.amdhsa_system_sgpr_workgroup_id_x 1
		.amdhsa_system_sgpr_workgroup_id_y 0
		.amdhsa_system_sgpr_workgroup_id_z 0
		.amdhsa_system_sgpr_workgroup_info 0
		.amdhsa_system_vgpr_workitem_id 0
		.amdhsa_next_free_vgpr 20
		.amdhsa_next_free_sgpr 22
		.amdhsa_reserve_vcc 1
		.amdhsa_reserve_flat_scratch 0
		.amdhsa_float_round_mode_32 0
		.amdhsa_float_round_mode_16_64 0
		.amdhsa_float_denorm_mode_32 3
		.amdhsa_float_denorm_mode_16_64 3
		.amdhsa_dx10_clamp 1
		.amdhsa_ieee_mode 1
		.amdhsa_fp16_overflow 0
		.amdhsa_exception_fp_ieee_invalid_op 0
		.amdhsa_exception_fp_denorm_src 0
		.amdhsa_exception_fp_ieee_div_zero 0
		.amdhsa_exception_fp_ieee_overflow 0
		.amdhsa_exception_fp_ieee_underflow 0
		.amdhsa_exception_fp_ieee_inexact 0
		.amdhsa_exception_int_div_zero 0
	.end_amdhsa_kernel
	.section	.text._ZN4vllm32rms_norm_static_fp8_quant_kernelIN3c104HalfENS1_15Float8_e4m3fnuzEEEvPT0_PKT_iS8_PKffii,"axG",@progbits,_ZN4vllm32rms_norm_static_fp8_quant_kernelIN3c104HalfENS1_15Float8_e4m3fnuzEEEvPT0_PKT_iS8_PKffii,comdat
.Lfunc_end3:
	.size	_ZN4vllm32rms_norm_static_fp8_quant_kernelIN3c104HalfENS1_15Float8_e4m3fnuzEEEvPT0_PKT_iS8_PKffii, .Lfunc_end3-_ZN4vllm32rms_norm_static_fp8_quant_kernelIN3c104HalfENS1_15Float8_e4m3fnuzEEEvPT0_PKT_iS8_PKffii
                                        ; -- End function
	.set _ZN4vllm32rms_norm_static_fp8_quant_kernelIN3c104HalfENS1_15Float8_e4m3fnuzEEEvPT0_PKT_iS8_PKffii.num_vgpr, 20
	.set _ZN4vllm32rms_norm_static_fp8_quant_kernelIN3c104HalfENS1_15Float8_e4m3fnuzEEEvPT0_PKT_iS8_PKffii.num_agpr, 0
	.set _ZN4vllm32rms_norm_static_fp8_quant_kernelIN3c104HalfENS1_15Float8_e4m3fnuzEEEvPT0_PKT_iS8_PKffii.numbered_sgpr, 22
	.set _ZN4vllm32rms_norm_static_fp8_quant_kernelIN3c104HalfENS1_15Float8_e4m3fnuzEEEvPT0_PKT_iS8_PKffii.num_named_barrier, 0
	.set _ZN4vllm32rms_norm_static_fp8_quant_kernelIN3c104HalfENS1_15Float8_e4m3fnuzEEEvPT0_PKT_iS8_PKffii.private_seg_size, 0
	.set _ZN4vllm32rms_norm_static_fp8_quant_kernelIN3c104HalfENS1_15Float8_e4m3fnuzEEEvPT0_PKT_iS8_PKffii.uses_vcc, 1
	.set _ZN4vllm32rms_norm_static_fp8_quant_kernelIN3c104HalfENS1_15Float8_e4m3fnuzEEEvPT0_PKT_iS8_PKffii.uses_flat_scratch, 0
	.set _ZN4vllm32rms_norm_static_fp8_quant_kernelIN3c104HalfENS1_15Float8_e4m3fnuzEEEvPT0_PKT_iS8_PKffii.has_dyn_sized_stack, 0
	.set _ZN4vllm32rms_norm_static_fp8_quant_kernelIN3c104HalfENS1_15Float8_e4m3fnuzEEEvPT0_PKT_iS8_PKffii.has_recursion, 0
	.set _ZN4vllm32rms_norm_static_fp8_quant_kernelIN3c104HalfENS1_15Float8_e4m3fnuzEEEvPT0_PKT_iS8_PKffii.has_indirect_call, 0
	.section	.AMDGPU.csdata,"",@progbits
; Kernel info:
; codeLenInByte = 1708
; TotalNumSgprs: 26
; NumVgprs: 20
; ScratchSize: 0
; MemoryBound: 0
; FloatMode: 240
; IeeeMode: 1
; LDSByteSize: 68 bytes/workgroup (compile time only)
; SGPRBlocks: 3
; VGPRBlocks: 4
; NumSGPRsForWavesPerEU: 26
; NumVGPRsForWavesPerEU: 20
; Occupancy: 10
; WaveLimiterHint : 0
; COMPUTE_PGM_RSRC2:SCRATCH_EN: 0
; COMPUTE_PGM_RSRC2:USER_SGPR: 6
; COMPUTE_PGM_RSRC2:TRAP_HANDLER: 0
; COMPUTE_PGM_RSRC2:TGID_X_EN: 1
; COMPUTE_PGM_RSRC2:TGID_Y_EN: 0
; COMPUTE_PGM_RSRC2:TGID_Z_EN: 0
; COMPUTE_PGM_RSRC2:TIDIG_COMP_CNT: 0
	.section	.text._ZN4vllm32rms_norm_static_fp8_quant_kernelIN3c108BFloat16ENS1_13Float8_e4m3fnEEEvPT0_PKT_iS8_PKffii,"axG",@progbits,_ZN4vllm32rms_norm_static_fp8_quant_kernelIN3c108BFloat16ENS1_13Float8_e4m3fnEEEvPT0_PKT_iS8_PKffii,comdat
	.protected	_ZN4vllm32rms_norm_static_fp8_quant_kernelIN3c108BFloat16ENS1_13Float8_e4m3fnEEEvPT0_PKT_iS8_PKffii ; -- Begin function _ZN4vllm32rms_norm_static_fp8_quant_kernelIN3c108BFloat16ENS1_13Float8_e4m3fnEEEvPT0_PKT_iS8_PKffii
	.globl	_ZN4vllm32rms_norm_static_fp8_quant_kernelIN3c108BFloat16ENS1_13Float8_e4m3fnEEEvPT0_PKT_iS8_PKffii
	.p2align	8
	.type	_ZN4vllm32rms_norm_static_fp8_quant_kernelIN3c108BFloat16ENS1_13Float8_e4m3fnEEEvPT0_PKT_iS8_PKffii,@function
_ZN4vllm32rms_norm_static_fp8_quant_kernelIN3c108BFloat16ENS1_13Float8_e4m3fnEEEvPT0_PKT_iS8_PKffii: ; @_ZN4vllm32rms_norm_static_fp8_quant_kernelIN3c108BFloat16ENS1_13Float8_e4m3fnEEEvPT0_PKT_iS8_PKffii
; %bb.0:
	s_load_dword s20, s[4:5], 0x30
	s_load_dwordx2 s[12:13], s[4:5], 0x8
                                        ; implicit-def: $sgpr7
	s_waitcnt lgkmcnt(0)
	v_cmp_gt_i32_e64 s[0:1], s20, v0
	v_cmp_le_i32_e32 vcc, s20, v0
	s_and_saveexec_b64 s[2:3], vcc
	s_xor_b64 s[2:3], exec, s[2:3]
	s_cbranch_execz .LBB4_2
; %bb.1:
	s_load_dword s7, s[4:5], 0x44
	s_waitcnt lgkmcnt(0)
	s_and_b32 s7, s7, 0xffff
.LBB4_2:
	s_or_saveexec_b64 s[2:3], s[2:3]
	s_load_dwordx4 s[8:11], s[4:5], 0x18
	s_load_dwordx2 s[14:15], s[4:5], 0x0
	s_load_dword s18, s[4:5], 0x10
	v_mov_b32_e32 v3, 0
	v_mov_b32_e32 v1, s6
	;; [unrolled: 1-line block ×3, first 2 shown]
	s_xor_b64 exec, exec, s[2:3]
	s_cbranch_execz .LBB4_6
; %bb.3:
	s_load_dword s19, s[4:5], 0x44
	s_waitcnt lgkmcnt(0)
	s_mul_i32 s7, s18, s6
	v_mov_b32_e32 v2, 0
	s_mov_b64 s[16:17], 0
	v_mov_b32_e32 v4, s13
	s_and_b32 s19, s19, 0xffff
	v_mov_b32_e32 v3, 0
	v_mov_b32_e32 v5, v0
.LBB4_4:                                ; =>This Inner Loop Header: Depth=1
	v_add_u32_e32 v1, s7, v5
	v_lshlrev_b64 v[6:7], 1, v[1:2]
	v_add_u32_e32 v5, s19, v5
	v_add_co_u32_e32 v6, vcc, s12, v6
	v_addc_co_u32_e32 v7, vcc, v4, v7, vcc
	global_load_ushort v1, v[6:7], off
	v_cmp_le_i32_e32 vcc, s20, v5
	s_or_b64 s[16:17], vcc, s[16:17]
	s_waitcnt vmcnt(0)
	v_lshlrev_b32_e32 v1, 16, v1
	v_fmac_f32_e32 v3, v1, v1
	s_andn2_b64 exec, exec, s[16:17]
	s_cbranch_execnz .LBB4_4
; %bb.5:
	s_or_b64 exec, exec, s[16:17]
	v_mov_b32_e32 v1, s6
	v_mov_b32_e32 v5, s19
.LBB4_6:
	s_or_b64 exec, exec, s[2:3]
	v_mbcnt_lo_u32_b32 v2, -1, 0
	v_mbcnt_hi_u32_b32 v2, -1, v2
	v_and_b32_e32 v4, 63, v2
	v_cmp_ne_u32_e32 vcc, 63, v4
	v_addc_co_u32_e32 v6, vcc, 0, v2, vcc
	v_lshlrev_b32_e32 v6, 2, v6
	ds_bpermute_b32 v6, v6, v3
	v_and_b32_e32 v7, 0x3c0, v0
	v_sub_u32_e64 v7, v5, v7 clamp
	v_add_u32_e32 v8, 1, v2
	v_cmp_lt_u32_e32 vcc, v8, v7
	s_waitcnt lgkmcnt(0)
	v_add_f32_e32 v6, v3, v6
	v_cndmask_b32_e32 v3, v3, v6, vcc
	v_cmp_gt_u32_e32 vcc, 62, v4
	v_cndmask_b32_e64 v6, 0, 2, vcc
	v_add_lshl_u32 v6, v6, v2, 2
	ds_bpermute_b32 v6, v6, v3
	v_add_u32_e32 v8, 2, v2
	v_cmp_lt_u32_e32 vcc, v8, v7
	v_add_u32_e32 v8, 4, v2
	s_waitcnt lgkmcnt(0)
	v_add_f32_e32 v6, v3, v6
	v_cndmask_b32_e32 v3, v3, v6, vcc
	v_cmp_gt_u32_e32 vcc, 60, v4
	v_cndmask_b32_e64 v6, 0, 4, vcc
	v_add_lshl_u32 v6, v6, v2, 2
	ds_bpermute_b32 v6, v6, v3
	v_cmp_lt_u32_e32 vcc, v8, v7
	v_add_u32_e32 v8, 8, v2
	s_waitcnt lgkmcnt(0)
	v_add_f32_e32 v6, v3, v6
	v_cndmask_b32_e32 v3, v3, v6, vcc
	v_cmp_gt_u32_e32 vcc, 56, v4
	v_cndmask_b32_e64 v6, 0, 8, vcc
	v_add_lshl_u32 v6, v6, v2, 2
	ds_bpermute_b32 v6, v6, v3
	;; [unrolled: 9-line block ×3, first 2 shown]
	v_add_u32_e32 v6, 16, v2
	v_cmp_lt_u32_e32 vcc, v6, v7
	s_waitcnt lgkmcnt(0)
	v_add_f32_e32 v4, v3, v4
	v_cndmask_b32_e32 v4, v3, v4, vcc
	v_lshlrev_b32_e32 v3, 2, v2
	v_or_b32_e32 v6, 0x80, v3
	ds_bpermute_b32 v6, v6, v4
	v_cmp_lt_u32_e32 vcc, v8, v7
	s_waitcnt lgkmcnt(0)
	v_add_f32_e32 v6, v4, v6
	v_cndmask_b32_e32 v4, v4, v6, vcc
	v_cmp_eq_u32_e32 vcc, 0, v2
	s_and_saveexec_b64 s[2:3], vcc
; %bb.7:
	v_lshrrev_b32_e32 v6, 4, v0
	v_and_b32_e32 v6, 60, v6
	ds_write_b32 v6, v4
; %bb.8:
	s_or_b64 exec, exec, s[2:3]
	v_cmp_gt_u32_e32 vcc, 16, v0
	s_waitcnt lgkmcnt(0)
	s_barrier
	s_and_saveexec_b64 s[6:7], vcc
	s_cbranch_execz .LBB4_10
; %bb.9:
	ds_read_b32 v4, v3
	v_and_b32_e32 v6, 15, v2
	v_cmp_ne_u32_e32 vcc, 15, v6
	v_addc_co_u32_e32 v7, vcc, 0, v2, vcc
	v_lshlrev_b32_e32 v7, 2, v7
	s_waitcnt lgkmcnt(0)
	ds_bpermute_b32 v7, v7, v4
	v_add_u32_e32 v8, 63, v5
	v_lshrrev_b32_e32 v8, 6, v8
	v_add_u32_e32 v9, 1, v6
	v_cmp_gt_u32_e64 s[2:3], 14, v6
	s_waitcnt lgkmcnt(0)
	v_add_f32_e32 v7, v4, v7
	v_cmp_lt_u32_e32 vcc, v9, v8
	v_cndmask_b32_e64 v9, 0, 2, s[2:3]
	v_cndmask_b32_e32 v7, v4, v7, vcc
	v_add_lshl_u32 v9, v9, v2, 2
	ds_bpermute_b32 v9, v9, v7
	v_add_u32_e32 v10, 2, v6
	v_cmp_lt_u32_e64 s[2:3], v10, v8
	v_or_b32_e32 v3, 32, v3
	s_waitcnt lgkmcnt(0)
	v_add_f32_e32 v9, v7, v9
	v_cndmask_b32_e64 v7, v7, v9, s[2:3]
	v_cmp_gt_u32_e64 s[2:3], 12, v6
	v_cndmask_b32_e64 v9, 0, 4, s[2:3]
	v_add_lshl_u32 v2, v9, v2, 2
	ds_bpermute_b32 v2, v2, v7
	v_add_u32_e32 v9, 4, v6
	v_cmp_lt_u32_e64 s[2:3], v9, v8
	v_add_u32_e32 v6, 8, v6
	s_waitcnt lgkmcnt(0)
	v_add_f32_e32 v2, v7, v2
	v_cndmask_b32_e64 v2, v7, v2, s[2:3]
	ds_bpermute_b32 v3, v3, v2
	v_cmp_lt_u32_e64 s[2:3], v6, v8
	s_waitcnt lgkmcnt(0)
	v_add_f32_e32 v3, v2, v3
	v_cndmask_b32_e64 v2, v2, v3, s[2:3]
	v_cndmask_b32_e32 v4, v4, v2, vcc
.LBB4_10:
	s_or_b64 exec, exec, s[6:7]
	v_cmp_eq_u32_e32 vcc, 0, v0
	s_and_saveexec_b64 s[2:3], vcc
	s_cbranch_execz .LBB4_12
; %bb.11:
	v_cvt_f32_i32_e32 v2, s20
	s_load_dword s4, s[4:5], 0x28
	s_mov_b32 s5, 0x800000
	v_div_scale_f32 v3, s[6:7], v2, v2, v4
	v_div_scale_f32 v6, vcc, v4, v2, v4
	v_rcp_f32_e32 v7, v3
	v_fma_f32 v8, -v3, v7, 1.0
	v_fmac_f32_e32 v7, v8, v7
	v_mul_f32_e32 v8, v6, v7
	v_fma_f32 v9, -v3, v8, v6
	v_fmac_f32_e32 v8, v9, v7
	v_fma_f32 v3, -v3, v8, v6
	v_div_fmas_f32 v3, v3, v7, v8
	v_div_fixup_f32 v2, v3, v2, v4
	s_waitcnt lgkmcnt(0)
	v_add_f32_e32 v2, s4, v2
	v_mul_f32_e32 v3, 0x4b800000, v2
	v_cmp_gt_f32_e32 vcc, s5, v2
	v_cndmask_b32_e32 v2, v2, v3, vcc
	v_rsq_f32_e32 v2, v2
	v_mul_f32_e32 v3, 0x45800000, v2
	v_cndmask_b32_e32 v2, v2, v3, vcc
	v_mov_b32_e32 v3, 0
	ds_write_b32 v3, v2 offset:64
.LBB4_12:
	s_or_b64 exec, exec, s[2:3]
	s_waitcnt lgkmcnt(0)
	s_barrier
	s_and_saveexec_b64 s[2:3], s[0:1]
	s_cbranch_execz .LBB4_33
; %bb.13:
	s_load_dword s10, s[10:11], 0x0
	v_mov_b32_e32 v2, 0
	ds_read_b32 v11, v2 offset:64
	v_mul_lo_u32 v6, s18, v1
	s_mov_b64 s[2:3], 0
	s_waitcnt lgkmcnt(0)
	v_div_scale_f32 v3, s[0:1], s10, s10, 1.0
	v_div_scale_f32 v4, vcc, 1.0, s10, 1.0
	v_mov_b32_e32 v10, 0x7fc00000
	s_mov_b64 s[4:5], 0x7f800000
	s_mov_b64 s[6:7], 0x43e00001
	s_movk_i32 s21, 0x79
	s_movk_i32 s22, 0x7f
	v_mov_b32_e32 v12, 0x78
	v_mov_b32_e32 v14, 0xffffff89
	v_rcp_f32_e32 v7, v3
	v_fma_f32 v8, -v3, v7, 1.0
	v_fmac_f32_e32 v7, v8, v7
	v_mul_f32_e32 v8, v4, v7
	v_fma_f32 v9, -v3, v8, v4
	v_fmac_f32_e32 v8, v9, v7
	v_fma_f32 v3, -v3, v8, v4
	v_div_fmas_f32 v3, v3, v7, v8
	v_mul_lo_u32 v7, s20, v1
	v_mov_b32_e32 v8, s13
	s_movk_i32 s13, 0x7fff
	v_mov_b32_e32 v9, s9
	s_movk_i32 s9, 0x80
	v_div_fixup_f32 v13, v3, s10, 1.0
	s_branch .LBB4_15
.LBB4_14:                               ;   in Loop: Header=BB4_15 Depth=1
	s_or_b64 exec, exec, s[0:1]
	v_add_u32_e32 v3, v7, v0
	v_add_u32_e32 v0, v0, v5
	v_cmp_le_i32_e32 vcc, s20, v0
	s_or_b64 s[2:3], vcc, s[2:3]
	global_store_byte v3, v1, s[14:15]
	s_andn2_b64 exec, exec, s[2:3]
	s_cbranch_execz .LBB4_33
.LBB4_15:                               ; =>This Inner Loop Header: Depth=1
	v_add_u32_e32 v1, v6, v0
	v_lshlrev_b64 v[3:4], 1, v[1:2]
	v_ashrrev_i32_e32 v1, 31, v0
	v_add_co_u32_e32 v3, vcc, s12, v3
	v_addc_co_u32_e32 v4, vcc, v8, v4, vcc
	global_load_ushort v15, v[3:4], off
	v_lshlrev_b64 v[3:4], 1, v[0:1]
	v_add_co_u32_e32 v3, vcc, s8, v3
	v_addc_co_u32_e32 v4, vcc, v9, v4, vcc
	global_load_ushort v1, v[3:4], off
	s_waitcnt vmcnt(1)
	v_lshlrev_b32_e32 v3, 16, v15
	v_mul_f32_e32 v3, v11, v3
	v_bfe_u32 v4, v3, 16, 1
	v_add3_u32 v4, v3, v4, s13
	v_and_b32_e32 v4, 0xffff0000, v4
	v_cmp_o_f32_e32 vcc, v3, v3
	v_cndmask_b32_e32 v3, v10, v4, vcc
	s_waitcnt vmcnt(0)
	v_lshlrev_b32_e32 v1, 16, v1
	v_mul_f32_e32 v1, v3, v1
	v_bfe_u32 v3, v1, 16, 1
	v_add3_u32 v3, v1, v3, s13
	v_and_b32_e32 v3, 0xffff0000, v3
	v_cmp_o_f32_e32 vcc, v1, v1
	v_cndmask_b32_e32 v1, v10, v3, vcc
	v_mul_f32_e32 v1, v13, v1
	v_min_f32_e32 v1, 0x43e00000, v1
	v_max_f32_e32 v3, 0xc3e00000, v1
	v_and_b32_e32 v1, 0x7f800000, v3
	v_cmp_ne_u64_e32 vcc, s[4:5], v[1:2]
                                        ; implicit-def: $vgpr1
	s_and_saveexec_b64 s[0:1], vcc
	s_xor_b64 s[10:11], exec, s[0:1]
	s_cbranch_execz .LBB4_31
; %bb.16:                               ;   in Loop: Header=BB4_15 Depth=1
	v_and_b32_e32 v1, 0x7fffffff, v3
	v_cmp_gt_u64_e32 vcc, s[6:7], v[1:2]
	v_and_b32_sdwa v15, v3, s9 dst_sel:DWORD dst_unused:UNUSED_PAD src0_sel:BYTE_3 src1_sel:DWORD
                                        ; implicit-def: $vgpr1
	s_and_saveexec_b64 s[0:1], vcc
	s_xor_b64 s[16:17], exec, s[0:1]
	s_cbranch_execz .LBB4_28
; %bb.17:                               ;   in Loop: Header=BB4_15 Depth=1
	v_cmp_ne_u32_e32 vcc, 0, v3
	v_mov_b32_e32 v1, 0
	s_and_saveexec_b64 s[18:19], vcc
	s_cbranch_execz .LBB4_27
; %bb.18:                               ;   in Loop: Header=BB4_15 Depth=1
	v_bfe_u32 v18, v3, 23, 8
	v_and_b32_e32 v1, 0x7fffff, v3
	v_sub_u32_e64 v3, s21, v18 clamp
	v_cmp_eq_u32_e32 vcc, 0, v18
	v_cndmask_b32_e32 v19, v3, v12, vcc
	v_or_b32_e32 v16, 0x800000, v1
	v_add_u32_e32 v3, 20, v19
	v_lshlrev_b64 v[3:4], v3, -1
	v_cndmask_b32_e32 v1, v16, v1, vcc
	v_add_u32_e32 v16, 19, v19
	v_lshlrev_b64 v[16:17], v16, 1
	v_bfi_b32 v4, v4, 0, 0
	v_bfi_b32 v3, v3, 0, v1
	v_cmp_eq_u64_e64 s[0:1], v[3:4], v[16:17]
	v_lshrrev_b64 v[3:4], v19, v[1:2]
	v_add_u32_e32 v1, 0xffffff88, v18
	v_cndmask_b32_e32 v1, v1, v14, vcc
	v_lshrrev_b32_e32 v4, 23, v3
	v_add3_u32 v17, v1, v19, v4
	v_and_b32_e32 v1, 0x100000, v3
	v_cmp_eq_u64_e32 vcc, 0, v[1:2]
	v_add_u32_e32 v18, -1, v17
	s_and_b64 vcc, vcc, s[0:1]
	v_subbrev_co_u32_e32 v1, vcc, 0, v3, vcc
	v_and_b32_e32 v1, 0xfffff, v1
	v_add_u32_e32 v1, v1, v3
	v_cmp_ne_u32_e32 vcc, 0, v18
                                        ; implicit-def: $vgpr3_vgpr4
                                        ; implicit-def: $vgpr16
	s_and_saveexec_b64 s[0:1], vcc
	s_xor_b64 s[0:1], exec, s[0:1]
; %bb.19:                               ;   in Loop: Header=BB4_15 Depth=1
	v_and_b32_e32 v19, 0x1000000, v1
	v_mov_b32_e32 v20, v2
	v_cmp_eq_u64_e32 vcc, 0, v[19:20]
	v_bfe_u32 v3, v1, 24, 1
	v_lshrrev_b64 v[3:4], v3, v[1:2]
	v_cndmask_b32_e32 v16, v17, v18, vcc
; %bb.20:                               ;   in Loop: Header=BB4_15 Depth=1
	s_andn2_saveexec_b64 s[0:1], s[0:1]
; %bb.21:                               ;   in Loop: Header=BB4_15 Depth=1
	v_mov_b32_e32 v4, v2
	v_bfe_u32 v16, v1, 23, 1
	v_mov_b32_e32 v3, v1
; %bb.22:                               ;   in Loop: Header=BB4_15 Depth=1
	s_or_b64 exec, exec, s[0:1]
	v_lshrrev_b64 v[3:4], 20, v[3:4]
	v_cmp_gt_i32_e32 vcc, 16, v16
	v_cndmask_b32_e32 v4, 0, v4, vcc
	v_cndmask_b32_e32 v3, 7, v3, vcc
	v_cmp_ne_u64_e32 vcc, 0, v[3:4]
	v_cmp_ne_u32_e64 s[0:1], 0, v16
	s_or_b64 s[0:1], s[0:1], vcc
                                        ; implicit-def: $vgpr1
	s_and_saveexec_b64 s[24:25], s[0:1]
	s_xor_b64 s[0:1], exec, s[24:25]
; %bb.23:                               ;   in Loop: Header=BB4_15 Depth=1
	v_min_i32_e32 v1, 15, v16
	v_lshl_or_b32 v1, v1, 3, v15
	v_and_or_b32 v1, v3, 7, v1
                                        ; implicit-def: $vgpr15
; %bb.24:                               ;   in Loop: Header=BB4_15 Depth=1
	s_andn2_saveexec_b64 s[0:1], s[0:1]
; %bb.25:                               ;   in Loop: Header=BB4_15 Depth=1
	v_mov_b32_e32 v1, v15
; %bb.26:                               ;   in Loop: Header=BB4_15 Depth=1
	s_or_b64 exec, exec, s[0:1]
.LBB4_27:                               ;   in Loop: Header=BB4_15 Depth=1
	s_or_b64 exec, exec, s[18:19]
                                        ; implicit-def: $vgpr15
.LBB4_28:                               ;   in Loop: Header=BB4_15 Depth=1
	s_andn2_saveexec_b64 s[0:1], s[16:17]
; %bb.29:                               ;   in Loop: Header=BB4_15 Depth=1
	v_or_b32_e32 v1, 0x7e, v15
; %bb.30:                               ;   in Loop: Header=BB4_15 Depth=1
	s_or_b64 exec, exec, s[0:1]
                                        ; implicit-def: $vgpr3
.LBB4_31:                               ;   in Loop: Header=BB4_15 Depth=1
	s_andn2_saveexec_b64 s[0:1], s[10:11]
	s_cbranch_execz .LBB4_14
; %bb.32:                               ;   in Loop: Header=BB4_15 Depth=1
	v_or_b32_sdwa v1, v3, s22 dst_sel:DWORD dst_unused:UNUSED_PAD src0_sel:BYTE_3 src1_sel:DWORD
	s_branch .LBB4_14
.LBB4_33:
	s_endpgm
	.section	.rodata,"a",@progbits
	.p2align	6, 0x0
	.amdhsa_kernel _ZN4vllm32rms_norm_static_fp8_quant_kernelIN3c108BFloat16ENS1_13Float8_e4m3fnEEEvPT0_PKT_iS8_PKffii
		.amdhsa_group_segment_fixed_size 68
		.amdhsa_private_segment_fixed_size 0
		.amdhsa_kernarg_size 312
		.amdhsa_user_sgpr_count 6
		.amdhsa_user_sgpr_private_segment_buffer 1
		.amdhsa_user_sgpr_dispatch_ptr 0
		.amdhsa_user_sgpr_queue_ptr 0
		.amdhsa_user_sgpr_kernarg_segment_ptr 1
		.amdhsa_user_sgpr_dispatch_id 0
		.amdhsa_user_sgpr_flat_scratch_init 0
		.amdhsa_user_sgpr_private_segment_size 0
		.amdhsa_uses_dynamic_stack 0
		.amdhsa_system_sgpr_private_segment_wavefront_offset 0
		.amdhsa_system_sgpr_workgroup_id_x 1
		.amdhsa_system_sgpr_workgroup_id_y 0
		.amdhsa_system_sgpr_workgroup_id_z 0
		.amdhsa_system_sgpr_workgroup_info 0
		.amdhsa_system_vgpr_workitem_id 0
		.amdhsa_next_free_vgpr 21
		.amdhsa_next_free_sgpr 26
		.amdhsa_reserve_vcc 1
		.amdhsa_reserve_flat_scratch 0
		.amdhsa_float_round_mode_32 0
		.amdhsa_float_round_mode_16_64 0
		.amdhsa_float_denorm_mode_32 3
		.amdhsa_float_denorm_mode_16_64 3
		.amdhsa_dx10_clamp 1
		.amdhsa_ieee_mode 1
		.amdhsa_fp16_overflow 0
		.amdhsa_exception_fp_ieee_invalid_op 0
		.amdhsa_exception_fp_denorm_src 0
		.amdhsa_exception_fp_ieee_div_zero 0
		.amdhsa_exception_fp_ieee_overflow 0
		.amdhsa_exception_fp_ieee_underflow 0
		.amdhsa_exception_fp_ieee_inexact 0
		.amdhsa_exception_int_div_zero 0
	.end_amdhsa_kernel
	.section	.text._ZN4vllm32rms_norm_static_fp8_quant_kernelIN3c108BFloat16ENS1_13Float8_e4m3fnEEEvPT0_PKT_iS8_PKffii,"axG",@progbits,_ZN4vllm32rms_norm_static_fp8_quant_kernelIN3c108BFloat16ENS1_13Float8_e4m3fnEEEvPT0_PKT_iS8_PKffii,comdat
.Lfunc_end4:
	.size	_ZN4vllm32rms_norm_static_fp8_quant_kernelIN3c108BFloat16ENS1_13Float8_e4m3fnEEEvPT0_PKT_iS8_PKffii, .Lfunc_end4-_ZN4vllm32rms_norm_static_fp8_quant_kernelIN3c108BFloat16ENS1_13Float8_e4m3fnEEEvPT0_PKT_iS8_PKffii
                                        ; -- End function
	.set _ZN4vllm32rms_norm_static_fp8_quant_kernelIN3c108BFloat16ENS1_13Float8_e4m3fnEEEvPT0_PKT_iS8_PKffii.num_vgpr, 21
	.set _ZN4vllm32rms_norm_static_fp8_quant_kernelIN3c108BFloat16ENS1_13Float8_e4m3fnEEEvPT0_PKT_iS8_PKffii.num_agpr, 0
	.set _ZN4vllm32rms_norm_static_fp8_quant_kernelIN3c108BFloat16ENS1_13Float8_e4m3fnEEEvPT0_PKT_iS8_PKffii.numbered_sgpr, 26
	.set _ZN4vllm32rms_norm_static_fp8_quant_kernelIN3c108BFloat16ENS1_13Float8_e4m3fnEEEvPT0_PKT_iS8_PKffii.num_named_barrier, 0
	.set _ZN4vllm32rms_norm_static_fp8_quant_kernelIN3c108BFloat16ENS1_13Float8_e4m3fnEEEvPT0_PKT_iS8_PKffii.private_seg_size, 0
	.set _ZN4vllm32rms_norm_static_fp8_quant_kernelIN3c108BFloat16ENS1_13Float8_e4m3fnEEEvPT0_PKT_iS8_PKffii.uses_vcc, 1
	.set _ZN4vllm32rms_norm_static_fp8_quant_kernelIN3c108BFloat16ENS1_13Float8_e4m3fnEEEvPT0_PKT_iS8_PKffii.uses_flat_scratch, 0
	.set _ZN4vllm32rms_norm_static_fp8_quant_kernelIN3c108BFloat16ENS1_13Float8_e4m3fnEEEvPT0_PKT_iS8_PKffii.has_dyn_sized_stack, 0
	.set _ZN4vllm32rms_norm_static_fp8_quant_kernelIN3c108BFloat16ENS1_13Float8_e4m3fnEEEvPT0_PKT_iS8_PKffii.has_recursion, 0
	.set _ZN4vllm32rms_norm_static_fp8_quant_kernelIN3c108BFloat16ENS1_13Float8_e4m3fnEEEvPT0_PKT_iS8_PKffii.has_indirect_call, 0
	.section	.AMDGPU.csdata,"",@progbits
; Kernel info:
; codeLenInByte = 1804
; TotalNumSgprs: 30
; NumVgprs: 21
; ScratchSize: 0
; MemoryBound: 0
; FloatMode: 240
; IeeeMode: 1
; LDSByteSize: 68 bytes/workgroup (compile time only)
; SGPRBlocks: 3
; VGPRBlocks: 5
; NumSGPRsForWavesPerEU: 30
; NumVGPRsForWavesPerEU: 21
; Occupancy: 10
; WaveLimiterHint : 0
; COMPUTE_PGM_RSRC2:SCRATCH_EN: 0
; COMPUTE_PGM_RSRC2:USER_SGPR: 6
; COMPUTE_PGM_RSRC2:TRAP_HANDLER: 0
; COMPUTE_PGM_RSRC2:TGID_X_EN: 1
; COMPUTE_PGM_RSRC2:TGID_Y_EN: 0
; COMPUTE_PGM_RSRC2:TGID_Z_EN: 0
; COMPUTE_PGM_RSRC2:TIDIG_COMP_CNT: 0
	.section	.text._ZN4vllm32rms_norm_static_fp8_quant_kernelIN3c108BFloat16ENS1_15Float8_e4m3fnuzEEEvPT0_PKT_iS8_PKffii,"axG",@progbits,_ZN4vllm32rms_norm_static_fp8_quant_kernelIN3c108BFloat16ENS1_15Float8_e4m3fnuzEEEvPT0_PKT_iS8_PKffii,comdat
	.protected	_ZN4vllm32rms_norm_static_fp8_quant_kernelIN3c108BFloat16ENS1_15Float8_e4m3fnuzEEEvPT0_PKT_iS8_PKffii ; -- Begin function _ZN4vllm32rms_norm_static_fp8_quant_kernelIN3c108BFloat16ENS1_15Float8_e4m3fnuzEEEvPT0_PKT_iS8_PKffii
	.globl	_ZN4vllm32rms_norm_static_fp8_quant_kernelIN3c108BFloat16ENS1_15Float8_e4m3fnuzEEEvPT0_PKT_iS8_PKffii
	.p2align	8
	.type	_ZN4vllm32rms_norm_static_fp8_quant_kernelIN3c108BFloat16ENS1_15Float8_e4m3fnuzEEEvPT0_PKT_iS8_PKffii,@function
_ZN4vllm32rms_norm_static_fp8_quant_kernelIN3c108BFloat16ENS1_15Float8_e4m3fnuzEEEvPT0_PKT_iS8_PKffii: ; @_ZN4vllm32rms_norm_static_fp8_quant_kernelIN3c108BFloat16ENS1_15Float8_e4m3fnuzEEEvPT0_PKT_iS8_PKffii
; %bb.0:
	s_load_dword s20, s[4:5], 0x30
	s_load_dwordx2 s[12:13], s[4:5], 0x8
                                        ; implicit-def: $sgpr7
	s_waitcnt lgkmcnt(0)
	v_cmp_gt_i32_e64 s[0:1], s20, v0
	v_cmp_le_i32_e32 vcc, s20, v0
	s_and_saveexec_b64 s[2:3], vcc
	s_xor_b64 s[2:3], exec, s[2:3]
	s_cbranch_execz .LBB5_2
; %bb.1:
	s_load_dword s7, s[4:5], 0x44
	s_waitcnt lgkmcnt(0)
	s_and_b32 s7, s7, 0xffff
.LBB5_2:
	s_or_saveexec_b64 s[2:3], s[2:3]
	s_load_dwordx4 s[8:11], s[4:5], 0x18
	s_load_dwordx2 s[14:15], s[4:5], 0x0
	s_load_dword s18, s[4:5], 0x10
	v_mov_b32_e32 v3, 0
	v_mov_b32_e32 v1, s6
	v_mov_b32_e32 v5, s7
	s_xor_b64 exec, exec, s[2:3]
	s_cbranch_execz .LBB5_6
; %bb.3:
	s_load_dword s19, s[4:5], 0x44
	s_waitcnt lgkmcnt(0)
	s_mul_i32 s7, s18, s6
	v_mov_b32_e32 v2, 0
	s_mov_b64 s[16:17], 0
	v_mov_b32_e32 v4, s13
	s_and_b32 s19, s19, 0xffff
	v_mov_b32_e32 v3, 0
	v_mov_b32_e32 v5, v0
.LBB5_4:                                ; =>This Inner Loop Header: Depth=1
	v_add_u32_e32 v1, s7, v5
	v_lshlrev_b64 v[6:7], 1, v[1:2]
	v_add_u32_e32 v5, s19, v5
	v_add_co_u32_e32 v6, vcc, s12, v6
	v_addc_co_u32_e32 v7, vcc, v4, v7, vcc
	global_load_ushort v1, v[6:7], off
	v_cmp_le_i32_e32 vcc, s20, v5
	s_or_b64 s[16:17], vcc, s[16:17]
	s_waitcnt vmcnt(0)
	v_lshlrev_b32_e32 v1, 16, v1
	v_fmac_f32_e32 v3, v1, v1
	s_andn2_b64 exec, exec, s[16:17]
	s_cbranch_execnz .LBB5_4
; %bb.5:
	s_or_b64 exec, exec, s[16:17]
	v_mov_b32_e32 v1, s6
	v_mov_b32_e32 v5, s19
.LBB5_6:
	s_or_b64 exec, exec, s[2:3]
	v_mbcnt_lo_u32_b32 v2, -1, 0
	v_mbcnt_hi_u32_b32 v2, -1, v2
	v_and_b32_e32 v4, 63, v2
	v_cmp_ne_u32_e32 vcc, 63, v4
	v_addc_co_u32_e32 v6, vcc, 0, v2, vcc
	v_lshlrev_b32_e32 v6, 2, v6
	ds_bpermute_b32 v6, v6, v3
	v_and_b32_e32 v7, 0x3c0, v0
	v_sub_u32_e64 v7, v5, v7 clamp
	v_add_u32_e32 v8, 1, v2
	v_cmp_lt_u32_e32 vcc, v8, v7
	s_waitcnt lgkmcnt(0)
	v_add_f32_e32 v6, v3, v6
	v_cndmask_b32_e32 v3, v3, v6, vcc
	v_cmp_gt_u32_e32 vcc, 62, v4
	v_cndmask_b32_e64 v6, 0, 2, vcc
	v_add_lshl_u32 v6, v6, v2, 2
	ds_bpermute_b32 v6, v6, v3
	v_add_u32_e32 v8, 2, v2
	v_cmp_lt_u32_e32 vcc, v8, v7
	v_add_u32_e32 v8, 4, v2
	s_waitcnt lgkmcnt(0)
	v_add_f32_e32 v6, v3, v6
	v_cndmask_b32_e32 v3, v3, v6, vcc
	v_cmp_gt_u32_e32 vcc, 60, v4
	v_cndmask_b32_e64 v6, 0, 4, vcc
	v_add_lshl_u32 v6, v6, v2, 2
	ds_bpermute_b32 v6, v6, v3
	v_cmp_lt_u32_e32 vcc, v8, v7
	v_add_u32_e32 v8, 8, v2
	s_waitcnt lgkmcnt(0)
	v_add_f32_e32 v6, v3, v6
	v_cndmask_b32_e32 v3, v3, v6, vcc
	v_cmp_gt_u32_e32 vcc, 56, v4
	v_cndmask_b32_e64 v6, 0, 8, vcc
	v_add_lshl_u32 v6, v6, v2, 2
	ds_bpermute_b32 v6, v6, v3
	;; [unrolled: 9-line block ×3, first 2 shown]
	v_add_u32_e32 v6, 16, v2
	v_cmp_lt_u32_e32 vcc, v6, v7
	s_waitcnt lgkmcnt(0)
	v_add_f32_e32 v4, v3, v4
	v_cndmask_b32_e32 v4, v3, v4, vcc
	v_lshlrev_b32_e32 v3, 2, v2
	v_or_b32_e32 v6, 0x80, v3
	ds_bpermute_b32 v6, v6, v4
	v_cmp_lt_u32_e32 vcc, v8, v7
	s_waitcnt lgkmcnt(0)
	v_add_f32_e32 v6, v4, v6
	v_cndmask_b32_e32 v4, v4, v6, vcc
	v_cmp_eq_u32_e32 vcc, 0, v2
	s_and_saveexec_b64 s[2:3], vcc
; %bb.7:
	v_lshrrev_b32_e32 v6, 4, v0
	v_and_b32_e32 v6, 60, v6
	ds_write_b32 v6, v4
; %bb.8:
	s_or_b64 exec, exec, s[2:3]
	v_cmp_gt_u32_e32 vcc, 16, v0
	s_waitcnt lgkmcnt(0)
	s_barrier
	s_and_saveexec_b64 s[6:7], vcc
	s_cbranch_execz .LBB5_10
; %bb.9:
	ds_read_b32 v4, v3
	v_and_b32_e32 v6, 15, v2
	v_cmp_ne_u32_e32 vcc, 15, v6
	v_addc_co_u32_e32 v7, vcc, 0, v2, vcc
	v_lshlrev_b32_e32 v7, 2, v7
	s_waitcnt lgkmcnt(0)
	ds_bpermute_b32 v7, v7, v4
	v_add_u32_e32 v8, 63, v5
	v_lshrrev_b32_e32 v8, 6, v8
	v_add_u32_e32 v9, 1, v6
	v_cmp_gt_u32_e64 s[2:3], 14, v6
	s_waitcnt lgkmcnt(0)
	v_add_f32_e32 v7, v4, v7
	v_cmp_lt_u32_e32 vcc, v9, v8
	v_cndmask_b32_e64 v9, 0, 2, s[2:3]
	v_cndmask_b32_e32 v7, v4, v7, vcc
	v_add_lshl_u32 v9, v9, v2, 2
	ds_bpermute_b32 v9, v9, v7
	v_add_u32_e32 v10, 2, v6
	v_cmp_lt_u32_e64 s[2:3], v10, v8
	v_or_b32_e32 v3, 32, v3
	s_waitcnt lgkmcnt(0)
	v_add_f32_e32 v9, v7, v9
	v_cndmask_b32_e64 v7, v7, v9, s[2:3]
	v_cmp_gt_u32_e64 s[2:3], 12, v6
	v_cndmask_b32_e64 v9, 0, 4, s[2:3]
	v_add_lshl_u32 v2, v9, v2, 2
	ds_bpermute_b32 v2, v2, v7
	v_add_u32_e32 v9, 4, v6
	v_cmp_lt_u32_e64 s[2:3], v9, v8
	v_add_u32_e32 v6, 8, v6
	s_waitcnt lgkmcnt(0)
	v_add_f32_e32 v2, v7, v2
	v_cndmask_b32_e64 v2, v7, v2, s[2:3]
	ds_bpermute_b32 v3, v3, v2
	v_cmp_lt_u32_e64 s[2:3], v6, v8
	s_waitcnt lgkmcnt(0)
	v_add_f32_e32 v3, v2, v3
	v_cndmask_b32_e64 v2, v2, v3, s[2:3]
	v_cndmask_b32_e32 v4, v4, v2, vcc
.LBB5_10:
	s_or_b64 exec, exec, s[6:7]
	v_cmp_eq_u32_e32 vcc, 0, v0
	s_and_saveexec_b64 s[2:3], vcc
	s_cbranch_execz .LBB5_12
; %bb.11:
	v_cvt_f32_i32_e32 v2, s20
	s_load_dword s4, s[4:5], 0x28
	s_mov_b32 s5, 0x800000
	v_div_scale_f32 v3, s[6:7], v2, v2, v4
	v_div_scale_f32 v6, vcc, v4, v2, v4
	v_rcp_f32_e32 v7, v3
	v_fma_f32 v8, -v3, v7, 1.0
	v_fmac_f32_e32 v7, v8, v7
	v_mul_f32_e32 v8, v6, v7
	v_fma_f32 v9, -v3, v8, v6
	v_fmac_f32_e32 v8, v9, v7
	v_fma_f32 v3, -v3, v8, v6
	v_div_fmas_f32 v3, v3, v7, v8
	v_div_fixup_f32 v2, v3, v2, v4
	s_waitcnt lgkmcnt(0)
	v_add_f32_e32 v2, s4, v2
	v_mul_f32_e32 v3, 0x4b800000, v2
	v_cmp_gt_f32_e32 vcc, s5, v2
	v_cndmask_b32_e32 v2, v2, v3, vcc
	v_rsq_f32_e32 v2, v2
	v_mul_f32_e32 v3, 0x45800000, v2
	v_cndmask_b32_e32 v2, v2, v3, vcc
	v_mov_b32_e32 v3, 0
	ds_write_b32 v3, v2 offset:64
.LBB5_12:
	s_or_b64 exec, exec, s[2:3]
	s_waitcnt lgkmcnt(0)
	s_barrier
	s_and_saveexec_b64 s[2:3], s[0:1]
	s_cbranch_execz .LBB5_27
; %bb.13:
	s_load_dword s10, s[10:11], 0x0
	v_mov_b32_e32 v2, 0
	ds_read_b32 v11, v2 offset:64
	v_mul_lo_u32 v6, s18, v1
	s_mov_b64 s[2:3], 0
	s_waitcnt lgkmcnt(0)
	v_div_scale_f32 v3, s[0:1], s10, s10, 1.0
	v_div_scale_f32 v4, vcc, 1.0, s10, 1.0
	v_mov_b32_e32 v10, 0x7fc00000
	s_mov_b64 s[4:5], 0x7f800000
	s_mov_b64 s[6:7], 0x43700001
	s_movk_i32 s21, 0x80
	s_movk_i32 s22, 0x7f
	v_mov_b32_e32 v12, 0x77
	v_mov_b32_e32 v14, 0xffffff8a
	v_rcp_f32_e32 v7, v3
	v_fma_f32 v8, -v3, v7, 1.0
	v_fmac_f32_e32 v7, v8, v7
	v_mul_f32_e32 v8, v4, v7
	v_fma_f32 v9, -v3, v8, v4
	v_fmac_f32_e32 v8, v9, v7
	v_fma_f32 v3, -v3, v8, v4
	v_div_fmas_f32 v3, v3, v7, v8
	v_mul_lo_u32 v7, s20, v1
	v_mov_b32_e32 v8, s13
	s_movk_i32 s13, 0x7fff
	v_mov_b32_e32 v9, s9
	s_movk_i32 s9, 0x78
	v_div_fixup_f32 v13, v3, s10, 1.0
	s_branch .LBB5_16
.LBB5_14:                               ;   in Loop: Header=BB5_16 Depth=1
	s_or_b64 exec, exec, s[0:1]
.LBB5_15:                               ;   in Loop: Header=BB5_16 Depth=1
	s_or_b64 exec, exec, s[10:11]
	v_add_u32_e32 v3, v7, v0
	v_add_u32_e32 v0, v0, v5
	v_cmp_le_i32_e32 vcc, s20, v0
	s_or_b64 s[2:3], vcc, s[2:3]
	global_store_byte v3, v1, s[14:15]
	s_andn2_b64 exec, exec, s[2:3]
	s_cbranch_execz .LBB5_27
.LBB5_16:                               ; =>This Inner Loop Header: Depth=1
	v_add_u32_e32 v1, v6, v0
	v_lshlrev_b64 v[3:4], 1, v[1:2]
	v_ashrrev_i32_e32 v1, 31, v0
	v_add_co_u32_e32 v3, vcc, s12, v3
	v_addc_co_u32_e32 v4, vcc, v8, v4, vcc
	global_load_ushort v15, v[3:4], off
	v_lshlrev_b64 v[3:4], 1, v[0:1]
	v_add_co_u32_e32 v3, vcc, s8, v3
	v_addc_co_u32_e32 v4, vcc, v9, v4, vcc
	global_load_ushort v1, v[3:4], off
	s_waitcnt vmcnt(1)
	v_lshlrev_b32_e32 v3, 16, v15
	v_mul_f32_e32 v3, v11, v3
	v_bfe_u32 v4, v3, 16, 1
	v_add3_u32 v4, v3, v4, s13
	v_and_b32_e32 v4, 0xffff0000, v4
	v_cmp_o_f32_e32 vcc, v3, v3
	v_cndmask_b32_e32 v3, v10, v4, vcc
	s_waitcnt vmcnt(0)
	v_lshlrev_b32_e32 v1, 16, v1
	v_mul_f32_e32 v1, v3, v1
	v_bfe_u32 v3, v1, 16, 1
	v_add3_u32 v3, v1, v3, s13
	v_and_b32_e32 v3, 0xffff0000, v3
	v_cmp_o_f32_e32 vcc, v1, v1
	v_cndmask_b32_e32 v1, v10, v3, vcc
	v_mul_f32_e32 v1, v13, v1
	v_min_f32_e32 v1, 0x43600000, v1
	v_max_f32_e32 v15, 0xc3600000, v1
	v_and_b32_e32 v1, 0x7f800000, v15
	v_cmp_ne_u64_e32 vcc, s[4:5], v[1:2]
	v_mov_b32_e32 v1, 0x80
	s_and_saveexec_b64 s[10:11], vcc
	s_cbranch_execz .LBB5_15
; %bb.17:                               ;   in Loop: Header=BB5_16 Depth=1
	v_and_b32_e32 v1, 0x7fffffff, v15
	v_cmp_gt_u64_e32 vcc, s[6:7], v[1:2]
                                        ; implicit-def: $vgpr1
	s_and_saveexec_b64 s[0:1], vcc
	s_xor_b64 s[16:17], exec, s[0:1]
	s_cbranch_execz .LBB5_25
; %bb.18:                               ;   in Loop: Header=BB5_16 Depth=1
	v_cmp_ne_u32_e32 vcc, 0, v15
	v_mov_b32_e32 v1, 0
	s_and_saveexec_b64 s[18:19], vcc
	s_cbranch_execz .LBB5_24
; %bb.19:                               ;   in Loop: Header=BB5_16 Depth=1
	v_bfe_u32 v18, v15, 23, 8
	v_sub_u32_e64 v3, s9, v18 clamp
	v_cmp_eq_u32_e32 vcc, 0, v18
	v_and_b32_e32 v1, 0x7fffff, v15
	v_cndmask_b32_e32 v19, v3, v12, vcc
	v_or_b32_e32 v16, 0x800000, v1
	v_add_u32_e32 v3, 20, v19
	v_lshlrev_b64 v[3:4], v3, -1
	v_cndmask_b32_e32 v1, v16, v1, vcc
	v_add_u32_e32 v16, 19, v19
	v_lshlrev_b64 v[16:17], v16, 1
	v_bfi_b32 v4, v4, 0, 0
	v_bfi_b32 v3, v3, 0, v1
	v_cmp_eq_u64_e64 s[0:1], v[3:4], v[16:17]
	v_lshrrev_b64 v[3:4], v19, v[1:2]
	v_add_u32_e32 v1, 0xffffff89, v18
	v_cndmask_b32_e32 v1, v1, v14, vcc
	v_lshrrev_b32_e32 v4, 23, v3
	v_add3_u32 v17, v1, v19, v4
	v_and_b32_e32 v1, 0x100000, v3
	v_cmp_eq_u64_e32 vcc, 0, v[1:2]
	v_add_u32_e32 v18, -1, v17
	s_and_b64 vcc, vcc, s[0:1]
	v_subbrev_co_u32_e32 v1, vcc, 0, v3, vcc
	v_and_b32_e32 v1, 0xfffff, v1
	v_add_u32_e32 v1, v1, v3
	v_cmp_ne_u32_e32 vcc, 0, v18
                                        ; implicit-def: $vgpr3_vgpr4
                                        ; implicit-def: $vgpr16
	s_and_saveexec_b64 s[0:1], vcc
	s_xor_b64 s[0:1], exec, s[0:1]
; %bb.20:                               ;   in Loop: Header=BB5_16 Depth=1
	v_and_b32_e32 v19, 0x1000000, v1
	v_mov_b32_e32 v20, v2
	v_cmp_eq_u64_e32 vcc, 0, v[19:20]
	v_bfe_u32 v3, v1, 24, 1
	v_lshrrev_b64 v[3:4], v3, v[1:2]
	v_cndmask_b32_e32 v16, v17, v18, vcc
; %bb.21:                               ;   in Loop: Header=BB5_16 Depth=1
	s_andn2_saveexec_b64 s[0:1], s[0:1]
; %bb.22:                               ;   in Loop: Header=BB5_16 Depth=1
	v_mov_b32_e32 v4, v2
	v_bfe_u32 v16, v1, 23, 1
	v_mov_b32_e32 v3, v1
; %bb.23:                               ;   in Loop: Header=BB5_16 Depth=1
	s_or_b64 exec, exec, s[0:1]
	v_lshrrev_b64 v[3:4], 20, v[3:4]
	v_cmp_gt_i32_e32 vcc, 16, v16
	v_cndmask_b32_e32 v4, 0, v4, vcc
	v_cndmask_b32_e32 v3, 7, v3, vcc
	v_and_b32_sdwa v1, v15, s21 dst_sel:DWORD dst_unused:UNUSED_PAD src0_sel:BYTE_3 src1_sel:DWORD
	v_min_i32_e32 v15, 15, v16
	v_cmp_eq_u64_e64 s[0:1], 0, v[3:4]
	v_cmp_eq_u32_e32 vcc, 0, v16
	v_lshl_or_b32 v1, v15, 3, v1
	v_and_or_b32 v1, v3, 7, v1
	s_and_b64 s[0:1], vcc, s[0:1]
	v_cndmask_b32_e64 v1, v1, 0, s[0:1]
.LBB5_24:                               ;   in Loop: Header=BB5_16 Depth=1
	s_or_b64 exec, exec, s[18:19]
                                        ; implicit-def: $vgpr15
.LBB5_25:                               ;   in Loop: Header=BB5_16 Depth=1
	s_andn2_saveexec_b64 s[0:1], s[16:17]
	s_cbranch_execz .LBB5_14
; %bb.26:                               ;   in Loop: Header=BB5_16 Depth=1
	v_or_b32_sdwa v1, v15, s22 dst_sel:DWORD dst_unused:UNUSED_PAD src0_sel:BYTE_3 src1_sel:DWORD
	s_branch .LBB5_14
.LBB5_27:
	s_endpgm
	.section	.rodata,"a",@progbits
	.p2align	6, 0x0
	.amdhsa_kernel _ZN4vllm32rms_norm_static_fp8_quant_kernelIN3c108BFloat16ENS1_15Float8_e4m3fnuzEEEvPT0_PKT_iS8_PKffii
		.amdhsa_group_segment_fixed_size 68
		.amdhsa_private_segment_fixed_size 0
		.amdhsa_kernarg_size 312
		.amdhsa_user_sgpr_count 6
		.amdhsa_user_sgpr_private_segment_buffer 1
		.amdhsa_user_sgpr_dispatch_ptr 0
		.amdhsa_user_sgpr_queue_ptr 0
		.amdhsa_user_sgpr_kernarg_segment_ptr 1
		.amdhsa_user_sgpr_dispatch_id 0
		.amdhsa_user_sgpr_flat_scratch_init 0
		.amdhsa_user_sgpr_private_segment_size 0
		.amdhsa_uses_dynamic_stack 0
		.amdhsa_system_sgpr_private_segment_wavefront_offset 0
		.amdhsa_system_sgpr_workgroup_id_x 1
		.amdhsa_system_sgpr_workgroup_id_y 0
		.amdhsa_system_sgpr_workgroup_id_z 0
		.amdhsa_system_sgpr_workgroup_info 0
		.amdhsa_system_vgpr_workitem_id 0
		.amdhsa_next_free_vgpr 21
		.amdhsa_next_free_sgpr 23
		.amdhsa_reserve_vcc 1
		.amdhsa_reserve_flat_scratch 0
		.amdhsa_float_round_mode_32 0
		.amdhsa_float_round_mode_16_64 0
		.amdhsa_float_denorm_mode_32 3
		.amdhsa_float_denorm_mode_16_64 3
		.amdhsa_dx10_clamp 1
		.amdhsa_ieee_mode 1
		.amdhsa_fp16_overflow 0
		.amdhsa_exception_fp_ieee_invalid_op 0
		.amdhsa_exception_fp_denorm_src 0
		.amdhsa_exception_fp_ieee_div_zero 0
		.amdhsa_exception_fp_ieee_overflow 0
		.amdhsa_exception_fp_ieee_underflow 0
		.amdhsa_exception_fp_ieee_inexact 0
		.amdhsa_exception_int_div_zero 0
	.end_amdhsa_kernel
	.section	.text._ZN4vllm32rms_norm_static_fp8_quant_kernelIN3c108BFloat16ENS1_15Float8_e4m3fnuzEEEvPT0_PKT_iS8_PKffii,"axG",@progbits,_ZN4vllm32rms_norm_static_fp8_quant_kernelIN3c108BFloat16ENS1_15Float8_e4m3fnuzEEEvPT0_PKT_iS8_PKffii,comdat
.Lfunc_end5:
	.size	_ZN4vllm32rms_norm_static_fp8_quant_kernelIN3c108BFloat16ENS1_15Float8_e4m3fnuzEEEvPT0_PKT_iS8_PKffii, .Lfunc_end5-_ZN4vllm32rms_norm_static_fp8_quant_kernelIN3c108BFloat16ENS1_15Float8_e4m3fnuzEEEvPT0_PKT_iS8_PKffii
                                        ; -- End function
	.set _ZN4vllm32rms_norm_static_fp8_quant_kernelIN3c108BFloat16ENS1_15Float8_e4m3fnuzEEEvPT0_PKT_iS8_PKffii.num_vgpr, 21
	.set _ZN4vllm32rms_norm_static_fp8_quant_kernelIN3c108BFloat16ENS1_15Float8_e4m3fnuzEEEvPT0_PKT_iS8_PKffii.num_agpr, 0
	.set _ZN4vllm32rms_norm_static_fp8_quant_kernelIN3c108BFloat16ENS1_15Float8_e4m3fnuzEEEvPT0_PKT_iS8_PKffii.numbered_sgpr, 23
	.set _ZN4vllm32rms_norm_static_fp8_quant_kernelIN3c108BFloat16ENS1_15Float8_e4m3fnuzEEEvPT0_PKT_iS8_PKffii.num_named_barrier, 0
	.set _ZN4vllm32rms_norm_static_fp8_quant_kernelIN3c108BFloat16ENS1_15Float8_e4m3fnuzEEEvPT0_PKT_iS8_PKffii.private_seg_size, 0
	.set _ZN4vllm32rms_norm_static_fp8_quant_kernelIN3c108BFloat16ENS1_15Float8_e4m3fnuzEEEvPT0_PKT_iS8_PKffii.uses_vcc, 1
	.set _ZN4vllm32rms_norm_static_fp8_quant_kernelIN3c108BFloat16ENS1_15Float8_e4m3fnuzEEEvPT0_PKT_iS8_PKffii.uses_flat_scratch, 0
	.set _ZN4vllm32rms_norm_static_fp8_quant_kernelIN3c108BFloat16ENS1_15Float8_e4m3fnuzEEEvPT0_PKT_iS8_PKffii.has_dyn_sized_stack, 0
	.set _ZN4vllm32rms_norm_static_fp8_quant_kernelIN3c108BFloat16ENS1_15Float8_e4m3fnuzEEEvPT0_PKT_iS8_PKffii.has_recursion, 0
	.set _ZN4vllm32rms_norm_static_fp8_quant_kernelIN3c108BFloat16ENS1_15Float8_e4m3fnuzEEEvPT0_PKT_iS8_PKffii.has_indirect_call, 0
	.section	.AMDGPU.csdata,"",@progbits
; Kernel info:
; codeLenInByte = 1784
; TotalNumSgprs: 27
; NumVgprs: 21
; ScratchSize: 0
; MemoryBound: 0
; FloatMode: 240
; IeeeMode: 1
; LDSByteSize: 68 bytes/workgroup (compile time only)
; SGPRBlocks: 3
; VGPRBlocks: 5
; NumSGPRsForWavesPerEU: 27
; NumVGPRsForWavesPerEU: 21
; Occupancy: 10
; WaveLimiterHint : 0
; COMPUTE_PGM_RSRC2:SCRATCH_EN: 0
; COMPUTE_PGM_RSRC2:USER_SGPR: 6
; COMPUTE_PGM_RSRC2:TRAP_HANDLER: 0
; COMPUTE_PGM_RSRC2:TGID_X_EN: 1
; COMPUTE_PGM_RSRC2:TGID_Y_EN: 0
; COMPUTE_PGM_RSRC2:TGID_Z_EN: 0
; COMPUTE_PGM_RSRC2:TIDIG_COMP_CNT: 0
	.section	.text._ZN4vllm42fused_add_rms_norm_static_fp8_quant_kernelIfLi8EN3c1013Float8_e4m3fnEEENSt9enable_ifIXooeqT0_Li0Entsr12_typeConvertIT_EE6existsEvE4typeEPT1_PS4_iS9_PKS4_PKffii,"axG",@progbits,_ZN4vllm42fused_add_rms_norm_static_fp8_quant_kernelIfLi8EN3c1013Float8_e4m3fnEEENSt9enable_ifIXooeqT0_Li0Entsr12_typeConvertIT_EE6existsEvE4typeEPT1_PS4_iS9_PKS4_PKffii,comdat
	.protected	_ZN4vllm42fused_add_rms_norm_static_fp8_quant_kernelIfLi8EN3c1013Float8_e4m3fnEEENSt9enable_ifIXooeqT0_Li0Entsr12_typeConvertIT_EE6existsEvE4typeEPT1_PS4_iS9_PKS4_PKffii ; -- Begin function _ZN4vllm42fused_add_rms_norm_static_fp8_quant_kernelIfLi8EN3c1013Float8_e4m3fnEEENSt9enable_ifIXooeqT0_Li0Entsr12_typeConvertIT_EE6existsEvE4typeEPT1_PS4_iS9_PKS4_PKffii
	.globl	_ZN4vllm42fused_add_rms_norm_static_fp8_quant_kernelIfLi8EN3c1013Float8_e4m3fnEEENSt9enable_ifIXooeqT0_Li0Entsr12_typeConvertIT_EE6existsEvE4typeEPT1_PS4_iS9_PKS4_PKffii
	.p2align	8
	.type	_ZN4vllm42fused_add_rms_norm_static_fp8_quant_kernelIfLi8EN3c1013Float8_e4m3fnEEENSt9enable_ifIXooeqT0_Li0Entsr12_typeConvertIT_EE6existsEvE4typeEPT1_PS4_iS9_PKS4_PKffii,@function
_ZN4vllm42fused_add_rms_norm_static_fp8_quant_kernelIfLi8EN3c1013Float8_e4m3fnEEENSt9enable_ifIXooeqT0_Li0Entsr12_typeConvertIT_EE6existsEvE4typeEPT1_PS4_iS9_PKS4_PKffii: ; @_ZN4vllm42fused_add_rms_norm_static_fp8_quant_kernelIfLi8EN3c1013Float8_e4m3fnEEENSt9enable_ifIXooeqT0_Li0Entsr12_typeConvertIT_EE6existsEvE4typeEPT1_PS4_iS9_PKS4_PKffii
; %bb.0:
	s_load_dword s20, s[4:5], 0x38
	s_load_dwordx2 s[12:13], s[4:5], 0x18
                                        ; implicit-def: $sgpr7
	s_waitcnt lgkmcnt(0)
	v_cmp_gt_i32_e64 s[0:1], s20, v0
	v_cmp_le_i32_e32 vcc, s20, v0
	s_and_saveexec_b64 s[2:3], vcc
	s_xor_b64 s[2:3], exec, s[2:3]
	s_cbranch_execz .LBB6_2
; %bb.1:
	s_load_dword s7, s[4:5], 0x4c
	s_waitcnt lgkmcnt(0)
	s_and_b32 s7, s7, 0xffff
.LBB6_2:
	s_or_saveexec_b64 s[2:3], s[2:3]
	s_load_dwordx2 s[14:15], s[4:5], 0x0
	s_load_dwordx4 s[8:11], s[4:5], 0x20
	v_mov_b32_e32 v3, 0
	v_mov_b32_e32 v1, s6
	;; [unrolled: 1-line block ×3, first 2 shown]
	s_xor_b64 exec, exec, s[2:3]
	s_cbranch_execz .LBB6_6
; %bb.3:
	s_load_dword s22, s[4:5], 0x10
	s_load_dword s7, s[4:5], 0x4c
	s_load_dwordx2 s[16:17], s[4:5], 0x8
	s_mul_i32 s21, s20, s6
	v_mov_b32_e32 v2, 0
	s_waitcnt lgkmcnt(0)
	s_mul_i32 s22, s22, s6
	s_and_b32 s7, s7, 0xffff
	s_mov_b64 s[18:19], 0
	v_mov_b32_e32 v4, s17
	v_mov_b32_e32 v5, s13
	;; [unrolled: 1-line block ×4, first 2 shown]
.LBB6_4:                                ; =>This Inner Loop Header: Depth=1
	v_add_u32_e32 v1, s22, v6
	v_lshlrev_b64 v[7:8], 2, v[1:2]
	v_add_u32_e32 v1, s21, v6
	v_lshlrev_b64 v[9:10], 2, v[1:2]
	v_add_co_u32_e32 v7, vcc, s16, v7
	v_addc_co_u32_e32 v8, vcc, v4, v8, vcc
	global_load_dword v1, v[7:8], off
	v_add_co_u32_e32 v7, vcc, s12, v9
	v_addc_co_u32_e32 v8, vcc, v5, v10, vcc
	global_load_dword v9, v[7:8], off
	v_add_u32_e32 v6, s7, v6
	v_cmp_le_i32_e32 vcc, s20, v6
	s_or_b64 s[18:19], vcc, s[18:19]
	s_waitcnt vmcnt(0)
	v_add_f32_e32 v1, v1, v9
	v_fmac_f32_e32 v3, v1, v1
	global_store_dword v[7:8], v1, off
	s_andn2_b64 exec, exec, s[18:19]
	s_cbranch_execnz .LBB6_4
; %bb.5:
	s_or_b64 exec, exec, s[18:19]
	v_mov_b32_e32 v1, s6
	v_mov_b32_e32 v6, s7
.LBB6_6:
	s_or_b64 exec, exec, s[2:3]
	v_mbcnt_lo_u32_b32 v2, -1, 0
	v_mbcnt_hi_u32_b32 v2, -1, v2
	v_and_b32_e32 v4, 63, v2
	v_cmp_ne_u32_e32 vcc, 63, v4
	v_addc_co_u32_e32 v5, vcc, 0, v2, vcc
	v_lshlrev_b32_e32 v5, 2, v5
	ds_bpermute_b32 v5, v5, v3
	v_and_b32_e32 v7, 0x3c0, v0
	v_sub_u32_e64 v7, v6, v7 clamp
	v_add_u32_e32 v8, 1, v2
	v_cmp_lt_u32_e32 vcc, v8, v7
	s_waitcnt lgkmcnt(0)
	v_add_f32_e32 v5, v3, v5
	v_cndmask_b32_e32 v3, v3, v5, vcc
	v_cmp_gt_u32_e32 vcc, 62, v4
	v_cndmask_b32_e64 v5, 0, 2, vcc
	v_add_lshl_u32 v5, v5, v2, 2
	ds_bpermute_b32 v5, v5, v3
	v_add_u32_e32 v8, 2, v2
	v_cmp_lt_u32_e32 vcc, v8, v7
	v_add_u32_e32 v8, 4, v2
	s_waitcnt lgkmcnt(0)
	v_add_f32_e32 v5, v3, v5
	v_cndmask_b32_e32 v3, v3, v5, vcc
	v_cmp_gt_u32_e32 vcc, 60, v4
	v_cndmask_b32_e64 v5, 0, 4, vcc
	v_add_lshl_u32 v5, v5, v2, 2
	ds_bpermute_b32 v5, v5, v3
	v_cmp_lt_u32_e32 vcc, v8, v7
	v_add_u32_e32 v8, 8, v2
	s_waitcnt lgkmcnt(0)
	v_add_f32_e32 v5, v3, v5
	v_cndmask_b32_e32 v3, v3, v5, vcc
	v_cmp_gt_u32_e32 vcc, 56, v4
	v_cndmask_b32_e64 v5, 0, 8, vcc
	v_add_lshl_u32 v5, v5, v2, 2
	ds_bpermute_b32 v5, v5, v3
	;; [unrolled: 9-line block ×3, first 2 shown]
	v_add_u32_e32 v5, 16, v2
	v_cmp_lt_u32_e32 vcc, v5, v7
	s_waitcnt lgkmcnt(0)
	v_add_f32_e32 v4, v3, v4
	v_cndmask_b32_e32 v4, v3, v4, vcc
	v_lshlrev_b32_e32 v3, 2, v2
	v_or_b32_e32 v5, 0x80, v3
	ds_bpermute_b32 v5, v5, v4
	v_cmp_lt_u32_e32 vcc, v8, v7
	s_waitcnt lgkmcnt(0)
	v_add_f32_e32 v5, v4, v5
	v_cndmask_b32_e32 v4, v4, v5, vcc
	v_cmp_eq_u32_e32 vcc, 0, v2
	s_and_saveexec_b64 s[2:3], vcc
; %bb.7:
	v_lshrrev_b32_e32 v5, 4, v0
	v_and_b32_e32 v5, 60, v5
	ds_write_b32 v5, v4
; %bb.8:
	s_or_b64 exec, exec, s[2:3]
	v_cmp_gt_u32_e32 vcc, 16, v0
	s_waitcnt vmcnt(0) lgkmcnt(0)
	s_barrier
	s_and_saveexec_b64 s[6:7], vcc
	s_cbranch_execz .LBB6_10
; %bb.9:
	ds_read_b32 v4, v3
	v_and_b32_e32 v5, 15, v2
	v_cmp_ne_u32_e32 vcc, 15, v5
	v_addc_co_u32_e32 v7, vcc, 0, v2, vcc
	v_lshlrev_b32_e32 v7, 2, v7
	s_waitcnt lgkmcnt(0)
	ds_bpermute_b32 v7, v7, v4
	v_add_u32_e32 v8, 63, v6
	v_lshrrev_b32_e32 v8, 6, v8
	v_add_u32_e32 v9, 1, v5
	v_cmp_gt_u32_e64 s[2:3], 14, v5
	s_waitcnt lgkmcnt(0)
	v_add_f32_e32 v7, v4, v7
	v_cmp_lt_u32_e32 vcc, v9, v8
	v_cndmask_b32_e64 v9, 0, 2, s[2:3]
	v_cndmask_b32_e32 v7, v4, v7, vcc
	v_add_lshl_u32 v9, v9, v2, 2
	ds_bpermute_b32 v9, v9, v7
	v_add_u32_e32 v10, 2, v5
	v_cmp_lt_u32_e64 s[2:3], v10, v8
	v_or_b32_e32 v3, 32, v3
	s_waitcnt lgkmcnt(0)
	v_add_f32_e32 v9, v7, v9
	v_cndmask_b32_e64 v7, v7, v9, s[2:3]
	v_cmp_gt_u32_e64 s[2:3], 12, v5
	v_cndmask_b32_e64 v9, 0, 4, s[2:3]
	v_add_lshl_u32 v2, v9, v2, 2
	ds_bpermute_b32 v2, v2, v7
	v_add_u32_e32 v9, 4, v5
	v_cmp_lt_u32_e64 s[2:3], v9, v8
	v_add_u32_e32 v5, 8, v5
	s_waitcnt lgkmcnt(0)
	v_add_f32_e32 v2, v7, v2
	v_cndmask_b32_e64 v2, v7, v2, s[2:3]
	ds_bpermute_b32 v3, v3, v2
	v_cmp_lt_u32_e64 s[2:3], v5, v8
	s_waitcnt lgkmcnt(0)
	v_add_f32_e32 v3, v2, v3
	v_cndmask_b32_e64 v2, v2, v3, s[2:3]
	v_cndmask_b32_e32 v4, v4, v2, vcc
.LBB6_10:
	s_or_b64 exec, exec, s[6:7]
	v_cmp_eq_u32_e32 vcc, 0, v0
	s_and_saveexec_b64 s[2:3], vcc
	s_cbranch_execz .LBB6_12
; %bb.11:
	v_cvt_f32_i32_e32 v2, s20
	s_load_dword s4, s[4:5], 0x30
	s_mov_b32 s5, 0x800000
	v_div_scale_f32 v3, s[6:7], v2, v2, v4
	v_div_scale_f32 v5, vcc, v4, v2, v4
	v_rcp_f32_e32 v7, v3
	v_fma_f32 v8, -v3, v7, 1.0
	v_fmac_f32_e32 v7, v8, v7
	v_mul_f32_e32 v8, v5, v7
	v_fma_f32 v9, -v3, v8, v5
	v_fmac_f32_e32 v8, v9, v7
	v_fma_f32 v3, -v3, v8, v5
	v_div_fmas_f32 v3, v3, v7, v8
	v_div_fixup_f32 v2, v3, v2, v4
	s_waitcnt lgkmcnt(0)
	v_add_f32_e32 v2, s4, v2
	v_mul_f32_e32 v3, 0x4b800000, v2
	v_cmp_gt_f32_e32 vcc, s5, v2
	v_cndmask_b32_e32 v2, v2, v3, vcc
	v_rsq_f32_e32 v2, v2
	v_mul_f32_e32 v3, 0x45800000, v2
	v_cndmask_b32_e32 v2, v2, v3, vcc
	v_mov_b32_e32 v3, 0
	ds_write_b32 v3, v2 offset:64
.LBB6_12:
	s_or_b64 exec, exec, s[2:3]
	s_waitcnt lgkmcnt(0)
	s_barrier
	s_and_saveexec_b64 s[2:3], s[0:1]
	s_cbranch_execz .LBB6_33
; %bb.13:
	s_load_dword s10, s[10:11], 0x0
	s_mov_b64 s[2:3], 0
	v_mov_b32_e32 v8, s13
	v_mov_b32_e32 v9, s9
	s_mov_b64 s[4:5], 0x7f800000
	s_waitcnt lgkmcnt(0)
	v_div_scale_f32 v2, s[0:1], s10, s10, 1.0
	v_div_scale_f32 v3, vcc, 1.0, s10, 1.0
	s_movk_i32 s9, 0x80
	s_mov_b64 s[6:7], 0x43e00001
	s_movk_i32 s13, 0x79
	s_movk_i32 s21, 0x7f
	v_mov_b32_e32 v11, 0x78
	v_mov_b32_e32 v13, 0xffffff89
	v_rcp_f32_e32 v4, v2
	v_fma_f32 v5, -v2, v4, 1.0
	v_fmac_f32_e32 v4, v5, v4
	v_mul_f32_e32 v5, v3, v4
	v_fma_f32 v7, -v2, v5, v3
	v_fmac_f32_e32 v5, v7, v4
	v_fma_f32 v2, -v2, v5, v3
	v_div_fmas_f32 v2, v2, v4, v5
	v_mov_b32_e32 v3, 0
	ds_read_b32 v10, v3 offset:64
	v_mul_lo_u32 v7, s20, v1
	v_div_fixup_f32 v12, v2, s10, 1.0
	s_branch .LBB6_15
.LBB6_14:                               ;   in Loop: Header=BB6_15 Depth=1
	s_or_b64 exec, exec, s[0:1]
	v_mov_b32_e32 v4, s15
	v_add_co_u32_e32 v1, vcc, s14, v2
	v_addc_co_u32_e32 v2, vcc, 0, v4, vcc
	v_add_u32_e32 v0, v0, v6
	v_cmp_le_i32_e32 vcc, s20, v0
	s_or_b64 s[2:3], vcc, s[2:3]
	global_store_byte v[1:2], v5, off
	s_andn2_b64 exec, exec, s[2:3]
	s_cbranch_execz .LBB6_33
.LBB6_15:                               ; =>This Inner Loop Header: Depth=1
	v_add_u32_e32 v2, v7, v0
	v_lshlrev_b64 v[4:5], 2, v[2:3]
	v_ashrrev_i32_e32 v1, 31, v0
	v_add_co_u32_e32 v4, vcc, s12, v4
	v_addc_co_u32_e32 v5, vcc, v8, v5, vcc
	global_load_dword v14, v[4:5], off
	v_lshlrev_b64 v[4:5], 2, v[0:1]
	v_mov_b32_e32 v15, v3
	v_add_co_u32_e32 v4, vcc, s8, v4
	v_addc_co_u32_e32 v5, vcc, v9, v5, vcc
	global_load_dword v1, v[4:5], off
                                        ; implicit-def: $vgpr5
	s_waitcnt vmcnt(1) lgkmcnt(0)
	v_mul_f32_e32 v4, v14, v10
	s_waitcnt vmcnt(0)
	v_mul_f32_e32 v1, v4, v1
	v_mul_f32_e32 v1, v12, v1
	v_min_f32_e32 v1, 0x43e00000, v1
	v_max_f32_e32 v4, 0xc3e00000, v1
	v_and_b32_e32 v14, 0x7f800000, v4
	v_cmp_ne_u64_e32 vcc, s[4:5], v[14:15]
	s_and_saveexec_b64 s[0:1], vcc
	s_xor_b64 s[10:11], exec, s[0:1]
	s_cbranch_execz .LBB6_31
; %bb.16:                               ;   in Loop: Header=BB6_15 Depth=1
	v_and_b32_e32 v14, 0x7fffffff, v4
	v_mov_b32_e32 v15, v3
	v_cmp_gt_u64_e32 vcc, s[6:7], v[14:15]
	v_and_b32_sdwa v1, v4, s9 dst_sel:DWORD dst_unused:UNUSED_PAD src0_sel:BYTE_3 src1_sel:DWORD
                                        ; implicit-def: $vgpr5
	s_and_saveexec_b64 s[0:1], vcc
	s_xor_b64 s[16:17], exec, s[0:1]
	s_cbranch_execz .LBB6_28
; %bb.17:                               ;   in Loop: Header=BB6_15 Depth=1
	v_cmp_ne_u32_e32 vcc, 0, v4
	v_mov_b32_e32 v5, 0
	s_and_saveexec_b64 s[18:19], vcc
	s_cbranch_execz .LBB6_27
; %bb.18:                               ;   in Loop: Header=BB6_15 Depth=1
	v_bfe_u32 v18, v4, 23, 8
	v_and_b32_e32 v5, 0x7fffff, v4
	v_sub_u32_e64 v4, s13, v18 clamp
	v_cmp_eq_u32_e32 vcc, 0, v18
	v_or_b32_e32 v14, 0x800000, v5
	v_cndmask_b32_e32 v19, v4, v11, vcc
	v_cndmask_b32_e32 v4, v14, v5, vcc
	v_add_u32_e32 v5, 20, v19
	v_lshlrev_b64 v[14:15], v5, -1
	v_mov_b32_e32 v5, v3
	v_add_u32_e32 v16, 19, v19
	v_lshlrev_b64 v[16:17], v16, 1
	v_bfi_b32 v14, v14, 0, v4
	v_lshrrev_b64 v[4:5], v19, v[4:5]
	v_bfi_b32 v15, v15, 0, 0
	v_cmp_eq_u64_e64 s[0:1], v[14:15], v[16:17]
	v_add_u32_e32 v5, 0xffffff88, v18
	v_and_b32_e32 v16, 0x100000, v4
	v_mov_b32_e32 v17, v3
	v_cndmask_b32_e32 v5, v5, v13, vcc
	v_cmp_eq_u64_e32 vcc, 0, v[16:17]
	v_lshrrev_b32_e32 v14, 23, v4
	s_and_b64 vcc, vcc, s[0:1]
	v_add3_u32 v15, v5, v19, v14
	v_subbrev_co_u32_e32 v5, vcc, 0, v4, vcc
	v_add_u32_e32 v16, -1, v15
	v_and_b32_e32 v5, 0xfffff, v5
	v_add_u32_e32 v4, v5, v4
	v_mov_b32_e32 v5, v3
	v_cmp_ne_u32_e32 vcc, 0, v16
                                        ; implicit-def: $vgpr14
	s_and_saveexec_b64 s[0:1], vcc
	s_xor_b64 s[0:1], exec, s[0:1]
; %bb.19:                               ;   in Loop: Header=BB6_15 Depth=1
	v_and_b32_e32 v17, 0x1000000, v4
	v_mov_b32_e32 v18, v3
	v_cmp_eq_u64_e32 vcc, 0, v[17:18]
	v_bfe_u32 v14, v4, 24, 1
	v_lshrrev_b64 v[4:5], v14, v[4:5]
	v_cndmask_b32_e32 v14, v15, v16, vcc
; %bb.20:                               ;   in Loop: Header=BB6_15 Depth=1
	s_andn2_saveexec_b64 s[0:1], s[0:1]
; %bb.21:                               ;   in Loop: Header=BB6_15 Depth=1
	v_bfe_u32 v14, v4, 23, 1
; %bb.22:                               ;   in Loop: Header=BB6_15 Depth=1
	s_or_b64 exec, exec, s[0:1]
	v_lshrrev_b64 v[4:5], 20, v[4:5]
	v_cmp_gt_i32_e32 vcc, 16, v14
	v_cndmask_b32_e32 v5, 0, v5, vcc
	v_cndmask_b32_e32 v4, 7, v4, vcc
	v_cmp_ne_u64_e32 vcc, 0, v[4:5]
	v_cmp_ne_u32_e64 s[0:1], 0, v14
	s_or_b64 s[0:1], s[0:1], vcc
                                        ; implicit-def: $vgpr5
	s_and_saveexec_b64 s[22:23], s[0:1]
	s_xor_b64 s[0:1], exec, s[22:23]
; %bb.23:                               ;   in Loop: Header=BB6_15 Depth=1
	v_min_i32_e32 v5, 15, v14
	v_lshl_or_b32 v1, v5, 3, v1
	v_and_or_b32 v5, v4, 7, v1
                                        ; implicit-def: $vgpr1
; %bb.24:                               ;   in Loop: Header=BB6_15 Depth=1
	s_andn2_saveexec_b64 s[0:1], s[0:1]
; %bb.25:                               ;   in Loop: Header=BB6_15 Depth=1
	v_mov_b32_e32 v5, v1
; %bb.26:                               ;   in Loop: Header=BB6_15 Depth=1
	s_or_b64 exec, exec, s[0:1]
.LBB6_27:                               ;   in Loop: Header=BB6_15 Depth=1
	s_or_b64 exec, exec, s[18:19]
                                        ; implicit-def: $vgpr1
.LBB6_28:                               ;   in Loop: Header=BB6_15 Depth=1
	s_andn2_saveexec_b64 s[0:1], s[16:17]
; %bb.29:                               ;   in Loop: Header=BB6_15 Depth=1
	v_or_b32_e32 v5, 0x7e, v1
; %bb.30:                               ;   in Loop: Header=BB6_15 Depth=1
	s_or_b64 exec, exec, s[0:1]
                                        ; implicit-def: $vgpr4
.LBB6_31:                               ;   in Loop: Header=BB6_15 Depth=1
	s_andn2_saveexec_b64 s[0:1], s[10:11]
	s_cbranch_execz .LBB6_14
; %bb.32:                               ;   in Loop: Header=BB6_15 Depth=1
	v_or_b32_sdwa v5, v4, s21 dst_sel:DWORD dst_unused:UNUSED_PAD src0_sel:BYTE_3 src1_sel:DWORD
	s_branch .LBB6_14
.LBB6_33:
	s_endpgm
	.section	.rodata,"a",@progbits
	.p2align	6, 0x0
	.amdhsa_kernel _ZN4vllm42fused_add_rms_norm_static_fp8_quant_kernelIfLi8EN3c1013Float8_e4m3fnEEENSt9enable_ifIXooeqT0_Li0Entsr12_typeConvertIT_EE6existsEvE4typeEPT1_PS4_iS9_PKS4_PKffii
		.amdhsa_group_segment_fixed_size 68
		.amdhsa_private_segment_fixed_size 0
		.amdhsa_kernarg_size 320
		.amdhsa_user_sgpr_count 6
		.amdhsa_user_sgpr_private_segment_buffer 1
		.amdhsa_user_sgpr_dispatch_ptr 0
		.amdhsa_user_sgpr_queue_ptr 0
		.amdhsa_user_sgpr_kernarg_segment_ptr 1
		.amdhsa_user_sgpr_dispatch_id 0
		.amdhsa_user_sgpr_flat_scratch_init 0
		.amdhsa_user_sgpr_private_segment_size 0
		.amdhsa_uses_dynamic_stack 0
		.amdhsa_system_sgpr_private_segment_wavefront_offset 0
		.amdhsa_system_sgpr_workgroup_id_x 1
		.amdhsa_system_sgpr_workgroup_id_y 0
		.amdhsa_system_sgpr_workgroup_id_z 0
		.amdhsa_system_sgpr_workgroup_info 0
		.amdhsa_system_vgpr_workitem_id 0
		.amdhsa_next_free_vgpr 20
		.amdhsa_next_free_sgpr 24
		.amdhsa_reserve_vcc 1
		.amdhsa_reserve_flat_scratch 0
		.amdhsa_float_round_mode_32 0
		.amdhsa_float_round_mode_16_64 0
		.amdhsa_float_denorm_mode_32 3
		.amdhsa_float_denorm_mode_16_64 3
		.amdhsa_dx10_clamp 1
		.amdhsa_ieee_mode 1
		.amdhsa_fp16_overflow 0
		.amdhsa_exception_fp_ieee_invalid_op 0
		.amdhsa_exception_fp_denorm_src 0
		.amdhsa_exception_fp_ieee_div_zero 0
		.amdhsa_exception_fp_ieee_overflow 0
		.amdhsa_exception_fp_ieee_underflow 0
		.amdhsa_exception_fp_ieee_inexact 0
		.amdhsa_exception_int_div_zero 0
	.end_amdhsa_kernel
	.section	.text._ZN4vllm42fused_add_rms_norm_static_fp8_quant_kernelIfLi8EN3c1013Float8_e4m3fnEEENSt9enable_ifIXooeqT0_Li0Entsr12_typeConvertIT_EE6existsEvE4typeEPT1_PS4_iS9_PKS4_PKffii,"axG",@progbits,_ZN4vllm42fused_add_rms_norm_static_fp8_quant_kernelIfLi8EN3c1013Float8_e4m3fnEEENSt9enable_ifIXooeqT0_Li0Entsr12_typeConvertIT_EE6existsEvE4typeEPT1_PS4_iS9_PKS4_PKffii,comdat
.Lfunc_end6:
	.size	_ZN4vllm42fused_add_rms_norm_static_fp8_quant_kernelIfLi8EN3c1013Float8_e4m3fnEEENSt9enable_ifIXooeqT0_Li0Entsr12_typeConvertIT_EE6existsEvE4typeEPT1_PS4_iS9_PKS4_PKffii, .Lfunc_end6-_ZN4vllm42fused_add_rms_norm_static_fp8_quant_kernelIfLi8EN3c1013Float8_e4m3fnEEENSt9enable_ifIXooeqT0_Li0Entsr12_typeConvertIT_EE6existsEvE4typeEPT1_PS4_iS9_PKS4_PKffii
                                        ; -- End function
	.set _ZN4vllm42fused_add_rms_norm_static_fp8_quant_kernelIfLi8EN3c1013Float8_e4m3fnEEENSt9enable_ifIXooeqT0_Li0Entsr12_typeConvertIT_EE6existsEvE4typeEPT1_PS4_iS9_PKS4_PKffii.num_vgpr, 20
	.set _ZN4vllm42fused_add_rms_norm_static_fp8_quant_kernelIfLi8EN3c1013Float8_e4m3fnEEENSt9enable_ifIXooeqT0_Li0Entsr12_typeConvertIT_EE6existsEvE4typeEPT1_PS4_iS9_PKS4_PKffii.num_agpr, 0
	.set _ZN4vllm42fused_add_rms_norm_static_fp8_quant_kernelIfLi8EN3c1013Float8_e4m3fnEEENSt9enable_ifIXooeqT0_Li0Entsr12_typeConvertIT_EE6existsEvE4typeEPT1_PS4_iS9_PKS4_PKffii.numbered_sgpr, 24
	.set _ZN4vllm42fused_add_rms_norm_static_fp8_quant_kernelIfLi8EN3c1013Float8_e4m3fnEEENSt9enable_ifIXooeqT0_Li0Entsr12_typeConvertIT_EE6existsEvE4typeEPT1_PS4_iS9_PKS4_PKffii.num_named_barrier, 0
	.set _ZN4vllm42fused_add_rms_norm_static_fp8_quant_kernelIfLi8EN3c1013Float8_e4m3fnEEENSt9enable_ifIXooeqT0_Li0Entsr12_typeConvertIT_EE6existsEvE4typeEPT1_PS4_iS9_PKS4_PKffii.private_seg_size, 0
	.set _ZN4vllm42fused_add_rms_norm_static_fp8_quant_kernelIfLi8EN3c1013Float8_e4m3fnEEENSt9enable_ifIXooeqT0_Li0Entsr12_typeConvertIT_EE6existsEvE4typeEPT1_PS4_iS9_PKS4_PKffii.uses_vcc, 1
	.set _ZN4vllm42fused_add_rms_norm_static_fp8_quant_kernelIfLi8EN3c1013Float8_e4m3fnEEENSt9enable_ifIXooeqT0_Li0Entsr12_typeConvertIT_EE6existsEvE4typeEPT1_PS4_iS9_PKS4_PKffii.uses_flat_scratch, 0
	.set _ZN4vllm42fused_add_rms_norm_static_fp8_quant_kernelIfLi8EN3c1013Float8_e4m3fnEEENSt9enable_ifIXooeqT0_Li0Entsr12_typeConvertIT_EE6existsEvE4typeEPT1_PS4_iS9_PKS4_PKffii.has_dyn_sized_stack, 0
	.set _ZN4vllm42fused_add_rms_norm_static_fp8_quant_kernelIfLi8EN3c1013Float8_e4m3fnEEENSt9enable_ifIXooeqT0_Li0Entsr12_typeConvertIT_EE6existsEvE4typeEPT1_PS4_iS9_PKS4_PKffii.has_recursion, 0
	.set _ZN4vllm42fused_add_rms_norm_static_fp8_quant_kernelIfLi8EN3c1013Float8_e4m3fnEEENSt9enable_ifIXooeqT0_Li0Entsr12_typeConvertIT_EE6existsEvE4typeEPT1_PS4_iS9_PKS4_PKffii.has_indirect_call, 0
	.section	.AMDGPU.csdata,"",@progbits
; Kernel info:
; codeLenInByte = 1784
; TotalNumSgprs: 28
; NumVgprs: 20
; ScratchSize: 0
; MemoryBound: 0
; FloatMode: 240
; IeeeMode: 1
; LDSByteSize: 68 bytes/workgroup (compile time only)
; SGPRBlocks: 3
; VGPRBlocks: 4
; NumSGPRsForWavesPerEU: 28
; NumVGPRsForWavesPerEU: 20
; Occupancy: 10
; WaveLimiterHint : 0
; COMPUTE_PGM_RSRC2:SCRATCH_EN: 0
; COMPUTE_PGM_RSRC2:USER_SGPR: 6
; COMPUTE_PGM_RSRC2:TRAP_HANDLER: 0
; COMPUTE_PGM_RSRC2:TGID_X_EN: 1
; COMPUTE_PGM_RSRC2:TGID_Y_EN: 0
; COMPUTE_PGM_RSRC2:TGID_Z_EN: 0
; COMPUTE_PGM_RSRC2:TIDIG_COMP_CNT: 0
	.section	.text._ZN4vllm42fused_add_rms_norm_static_fp8_quant_kernelIfLi8EN3c1015Float8_e4m3fnuzEEENSt9enable_ifIXooeqT0_Li0Entsr12_typeConvertIT_EE6existsEvE4typeEPT1_PS4_iS9_PKS4_PKffii,"axG",@progbits,_ZN4vllm42fused_add_rms_norm_static_fp8_quant_kernelIfLi8EN3c1015Float8_e4m3fnuzEEENSt9enable_ifIXooeqT0_Li0Entsr12_typeConvertIT_EE6existsEvE4typeEPT1_PS4_iS9_PKS4_PKffii,comdat
	.protected	_ZN4vllm42fused_add_rms_norm_static_fp8_quant_kernelIfLi8EN3c1015Float8_e4m3fnuzEEENSt9enable_ifIXooeqT0_Li0Entsr12_typeConvertIT_EE6existsEvE4typeEPT1_PS4_iS9_PKS4_PKffii ; -- Begin function _ZN4vllm42fused_add_rms_norm_static_fp8_quant_kernelIfLi8EN3c1015Float8_e4m3fnuzEEENSt9enable_ifIXooeqT0_Li0Entsr12_typeConvertIT_EE6existsEvE4typeEPT1_PS4_iS9_PKS4_PKffii
	.globl	_ZN4vllm42fused_add_rms_norm_static_fp8_quant_kernelIfLi8EN3c1015Float8_e4m3fnuzEEENSt9enable_ifIXooeqT0_Li0Entsr12_typeConvertIT_EE6existsEvE4typeEPT1_PS4_iS9_PKS4_PKffii
	.p2align	8
	.type	_ZN4vllm42fused_add_rms_norm_static_fp8_quant_kernelIfLi8EN3c1015Float8_e4m3fnuzEEENSt9enable_ifIXooeqT0_Li0Entsr12_typeConvertIT_EE6existsEvE4typeEPT1_PS4_iS9_PKS4_PKffii,@function
_ZN4vllm42fused_add_rms_norm_static_fp8_quant_kernelIfLi8EN3c1015Float8_e4m3fnuzEEENSt9enable_ifIXooeqT0_Li0Entsr12_typeConvertIT_EE6existsEvE4typeEPT1_PS4_iS9_PKS4_PKffii: ; @_ZN4vllm42fused_add_rms_norm_static_fp8_quant_kernelIfLi8EN3c1015Float8_e4m3fnuzEEENSt9enable_ifIXooeqT0_Li0Entsr12_typeConvertIT_EE6existsEvE4typeEPT1_PS4_iS9_PKS4_PKffii
; %bb.0:
	s_load_dword s20, s[4:5], 0x38
	s_load_dwordx2 s[12:13], s[4:5], 0x18
                                        ; implicit-def: $sgpr7
	s_waitcnt lgkmcnt(0)
	v_cmp_gt_i32_e64 s[0:1], s20, v0
	v_cmp_le_i32_e32 vcc, s20, v0
	s_and_saveexec_b64 s[2:3], vcc
	s_xor_b64 s[2:3], exec, s[2:3]
	s_cbranch_execz .LBB7_2
; %bb.1:
	s_load_dword s7, s[4:5], 0x4c
	s_waitcnt lgkmcnt(0)
	s_and_b32 s7, s7, 0xffff
.LBB7_2:
	s_or_saveexec_b64 s[2:3], s[2:3]
	s_load_dwordx2 s[14:15], s[4:5], 0x0
	s_load_dwordx4 s[8:11], s[4:5], 0x20
	v_mov_b32_e32 v3, 0
	v_mov_b32_e32 v1, s6
	;; [unrolled: 1-line block ×3, first 2 shown]
	s_xor_b64 exec, exec, s[2:3]
	s_cbranch_execz .LBB7_6
; %bb.3:
	s_load_dword s22, s[4:5], 0x10
	s_load_dword s7, s[4:5], 0x4c
	s_load_dwordx2 s[16:17], s[4:5], 0x8
	s_mul_i32 s21, s20, s6
	v_mov_b32_e32 v2, 0
	s_waitcnt lgkmcnt(0)
	s_mul_i32 s22, s22, s6
	s_and_b32 s7, s7, 0xffff
	s_mov_b64 s[18:19], 0
	v_mov_b32_e32 v4, s17
	v_mov_b32_e32 v5, s13
	;; [unrolled: 1-line block ×4, first 2 shown]
.LBB7_4:                                ; =>This Inner Loop Header: Depth=1
	v_add_u32_e32 v1, s22, v6
	v_lshlrev_b64 v[7:8], 2, v[1:2]
	v_add_u32_e32 v1, s21, v6
	v_lshlrev_b64 v[9:10], 2, v[1:2]
	v_add_co_u32_e32 v7, vcc, s16, v7
	v_addc_co_u32_e32 v8, vcc, v4, v8, vcc
	global_load_dword v1, v[7:8], off
	v_add_co_u32_e32 v7, vcc, s12, v9
	v_addc_co_u32_e32 v8, vcc, v5, v10, vcc
	global_load_dword v9, v[7:8], off
	v_add_u32_e32 v6, s7, v6
	v_cmp_le_i32_e32 vcc, s20, v6
	s_or_b64 s[18:19], vcc, s[18:19]
	s_waitcnt vmcnt(0)
	v_add_f32_e32 v1, v1, v9
	v_fmac_f32_e32 v3, v1, v1
	global_store_dword v[7:8], v1, off
	s_andn2_b64 exec, exec, s[18:19]
	s_cbranch_execnz .LBB7_4
; %bb.5:
	s_or_b64 exec, exec, s[18:19]
	v_mov_b32_e32 v1, s6
	v_mov_b32_e32 v6, s7
.LBB7_6:
	s_or_b64 exec, exec, s[2:3]
	v_mbcnt_lo_u32_b32 v2, -1, 0
	v_mbcnt_hi_u32_b32 v2, -1, v2
	v_and_b32_e32 v4, 63, v2
	v_cmp_ne_u32_e32 vcc, 63, v4
	v_addc_co_u32_e32 v5, vcc, 0, v2, vcc
	v_lshlrev_b32_e32 v5, 2, v5
	ds_bpermute_b32 v5, v5, v3
	v_and_b32_e32 v7, 0x3c0, v0
	v_sub_u32_e64 v7, v6, v7 clamp
	v_add_u32_e32 v8, 1, v2
	v_cmp_lt_u32_e32 vcc, v8, v7
	s_waitcnt lgkmcnt(0)
	v_add_f32_e32 v5, v3, v5
	v_cndmask_b32_e32 v3, v3, v5, vcc
	v_cmp_gt_u32_e32 vcc, 62, v4
	v_cndmask_b32_e64 v5, 0, 2, vcc
	v_add_lshl_u32 v5, v5, v2, 2
	ds_bpermute_b32 v5, v5, v3
	v_add_u32_e32 v8, 2, v2
	v_cmp_lt_u32_e32 vcc, v8, v7
	v_add_u32_e32 v8, 4, v2
	s_waitcnt lgkmcnt(0)
	v_add_f32_e32 v5, v3, v5
	v_cndmask_b32_e32 v3, v3, v5, vcc
	v_cmp_gt_u32_e32 vcc, 60, v4
	v_cndmask_b32_e64 v5, 0, 4, vcc
	v_add_lshl_u32 v5, v5, v2, 2
	ds_bpermute_b32 v5, v5, v3
	v_cmp_lt_u32_e32 vcc, v8, v7
	v_add_u32_e32 v8, 8, v2
	s_waitcnt lgkmcnt(0)
	v_add_f32_e32 v5, v3, v5
	v_cndmask_b32_e32 v3, v3, v5, vcc
	v_cmp_gt_u32_e32 vcc, 56, v4
	v_cndmask_b32_e64 v5, 0, 8, vcc
	v_add_lshl_u32 v5, v5, v2, 2
	ds_bpermute_b32 v5, v5, v3
	;; [unrolled: 9-line block ×3, first 2 shown]
	v_add_u32_e32 v5, 16, v2
	v_cmp_lt_u32_e32 vcc, v5, v7
	s_waitcnt lgkmcnt(0)
	v_add_f32_e32 v4, v3, v4
	v_cndmask_b32_e32 v4, v3, v4, vcc
	v_lshlrev_b32_e32 v3, 2, v2
	v_or_b32_e32 v5, 0x80, v3
	ds_bpermute_b32 v5, v5, v4
	v_cmp_lt_u32_e32 vcc, v8, v7
	s_waitcnt lgkmcnt(0)
	v_add_f32_e32 v5, v4, v5
	v_cndmask_b32_e32 v4, v4, v5, vcc
	v_cmp_eq_u32_e32 vcc, 0, v2
	s_and_saveexec_b64 s[2:3], vcc
; %bb.7:
	v_lshrrev_b32_e32 v5, 4, v0
	v_and_b32_e32 v5, 60, v5
	ds_write_b32 v5, v4
; %bb.8:
	s_or_b64 exec, exec, s[2:3]
	v_cmp_gt_u32_e32 vcc, 16, v0
	s_waitcnt vmcnt(0) lgkmcnt(0)
	s_barrier
	s_and_saveexec_b64 s[6:7], vcc
	s_cbranch_execz .LBB7_10
; %bb.9:
	ds_read_b32 v4, v3
	v_and_b32_e32 v5, 15, v2
	v_cmp_ne_u32_e32 vcc, 15, v5
	v_addc_co_u32_e32 v7, vcc, 0, v2, vcc
	v_lshlrev_b32_e32 v7, 2, v7
	s_waitcnt lgkmcnt(0)
	ds_bpermute_b32 v7, v7, v4
	v_add_u32_e32 v8, 63, v6
	v_lshrrev_b32_e32 v8, 6, v8
	v_add_u32_e32 v9, 1, v5
	v_cmp_gt_u32_e64 s[2:3], 14, v5
	s_waitcnt lgkmcnt(0)
	v_add_f32_e32 v7, v4, v7
	v_cmp_lt_u32_e32 vcc, v9, v8
	v_cndmask_b32_e64 v9, 0, 2, s[2:3]
	v_cndmask_b32_e32 v7, v4, v7, vcc
	v_add_lshl_u32 v9, v9, v2, 2
	ds_bpermute_b32 v9, v9, v7
	v_add_u32_e32 v10, 2, v5
	v_cmp_lt_u32_e64 s[2:3], v10, v8
	v_or_b32_e32 v3, 32, v3
	s_waitcnt lgkmcnt(0)
	v_add_f32_e32 v9, v7, v9
	v_cndmask_b32_e64 v7, v7, v9, s[2:3]
	v_cmp_gt_u32_e64 s[2:3], 12, v5
	v_cndmask_b32_e64 v9, 0, 4, s[2:3]
	v_add_lshl_u32 v2, v9, v2, 2
	ds_bpermute_b32 v2, v2, v7
	v_add_u32_e32 v9, 4, v5
	v_cmp_lt_u32_e64 s[2:3], v9, v8
	v_add_u32_e32 v5, 8, v5
	s_waitcnt lgkmcnt(0)
	v_add_f32_e32 v2, v7, v2
	v_cndmask_b32_e64 v2, v7, v2, s[2:3]
	ds_bpermute_b32 v3, v3, v2
	v_cmp_lt_u32_e64 s[2:3], v5, v8
	s_waitcnt lgkmcnt(0)
	v_add_f32_e32 v3, v2, v3
	v_cndmask_b32_e64 v2, v2, v3, s[2:3]
	v_cndmask_b32_e32 v4, v4, v2, vcc
.LBB7_10:
	s_or_b64 exec, exec, s[6:7]
	v_cmp_eq_u32_e32 vcc, 0, v0
	s_and_saveexec_b64 s[2:3], vcc
	s_cbranch_execz .LBB7_12
; %bb.11:
	v_cvt_f32_i32_e32 v2, s20
	s_load_dword s4, s[4:5], 0x30
	s_mov_b32 s5, 0x800000
	v_div_scale_f32 v3, s[6:7], v2, v2, v4
	v_div_scale_f32 v5, vcc, v4, v2, v4
	v_rcp_f32_e32 v7, v3
	v_fma_f32 v8, -v3, v7, 1.0
	v_fmac_f32_e32 v7, v8, v7
	v_mul_f32_e32 v8, v5, v7
	v_fma_f32 v9, -v3, v8, v5
	v_fmac_f32_e32 v8, v9, v7
	v_fma_f32 v3, -v3, v8, v5
	v_div_fmas_f32 v3, v3, v7, v8
	v_div_fixup_f32 v2, v3, v2, v4
	s_waitcnt lgkmcnt(0)
	v_add_f32_e32 v2, s4, v2
	v_mul_f32_e32 v3, 0x4b800000, v2
	v_cmp_gt_f32_e32 vcc, s5, v2
	v_cndmask_b32_e32 v2, v2, v3, vcc
	v_rsq_f32_e32 v2, v2
	v_mul_f32_e32 v3, 0x45800000, v2
	v_cndmask_b32_e32 v2, v2, v3, vcc
	v_mov_b32_e32 v3, 0
	ds_write_b32 v3, v2 offset:64
.LBB7_12:
	s_or_b64 exec, exec, s[2:3]
	s_waitcnt lgkmcnt(0)
	s_barrier
	s_and_saveexec_b64 s[2:3], s[0:1]
	s_cbranch_execz .LBB7_27
; %bb.13:
	s_load_dword s10, s[10:11], 0x0
	s_mov_b64 s[2:3], 0
	v_mov_b32_e32 v8, s13
	v_mov_b32_e32 v9, s9
	s_mov_b64 s[4:5], 0x7f800000
	s_waitcnt lgkmcnt(0)
	v_div_scale_f32 v2, s[0:1], s10, s10, 1.0
	v_div_scale_f32 v3, vcc, 1.0, s10, 1.0
	s_mov_b64 s[6:7], 0x43700001
	s_movk_i32 s9, 0x78
	s_movk_i32 s13, 0x80
	;; [unrolled: 1-line block ×3, first 2 shown]
	v_mov_b32_e32 v11, 0x77
	v_mov_b32_e32 v13, 0xffffff8a
	v_rcp_f32_e32 v4, v2
	v_fma_f32 v5, -v2, v4, 1.0
	v_fmac_f32_e32 v4, v5, v4
	v_mul_f32_e32 v5, v3, v4
	v_fma_f32 v7, -v2, v5, v3
	v_fmac_f32_e32 v5, v7, v4
	v_fma_f32 v2, -v2, v5, v3
	v_div_fmas_f32 v2, v2, v4, v5
	v_mov_b32_e32 v3, 0
	ds_read_b32 v10, v3 offset:64
	v_mul_lo_u32 v7, s20, v1
	v_div_fixup_f32 v12, v2, s10, 1.0
	s_branch .LBB7_16
.LBB7_14:                               ;   in Loop: Header=BB7_16 Depth=1
	s_or_b64 exec, exec, s[0:1]
.LBB7_15:                               ;   in Loop: Header=BB7_16 Depth=1
	s_or_b64 exec, exec, s[10:11]
	v_mov_b32_e32 v5, s15
	v_add_co_u32_e32 v1, vcc, s14, v2
	v_addc_co_u32_e32 v2, vcc, 0, v5, vcc
	v_add_u32_e32 v0, v0, v6
	v_cmp_le_i32_e32 vcc, s20, v0
	s_or_b64 s[2:3], vcc, s[2:3]
	global_store_byte v[1:2], v4, off
	s_andn2_b64 exec, exec, s[2:3]
	s_cbranch_execz .LBB7_27
.LBB7_16:                               ; =>This Inner Loop Header: Depth=1
	v_add_u32_e32 v2, v7, v0
	v_lshlrev_b64 v[4:5], 2, v[2:3]
	v_ashrrev_i32_e32 v1, 31, v0
	v_add_co_u32_e32 v4, vcc, s12, v4
	v_addc_co_u32_e32 v5, vcc, v8, v5, vcc
	global_load_dword v14, v[4:5], off
	v_lshlrev_b64 v[4:5], 2, v[0:1]
	v_add_co_u32_e32 v4, vcc, s8, v4
	v_addc_co_u32_e32 v5, vcc, v9, v5, vcc
	global_load_dword v1, v[4:5], off
	v_mov_b32_e32 v5, v3
	s_waitcnt vmcnt(1) lgkmcnt(0)
	v_mul_f32_e32 v4, v14, v10
	s_waitcnt vmcnt(0)
	v_mul_f32_e32 v1, v4, v1
	v_mul_f32_e32 v1, v12, v1
	v_min_f32_e32 v1, 0x43600000, v1
	v_max_f32_e32 v1, 0xc3600000, v1
	v_and_b32_e32 v4, 0x7f800000, v1
	v_cmp_ne_u64_e32 vcc, s[4:5], v[4:5]
	v_mov_b32_e32 v4, 0x80
	s_and_saveexec_b64 s[10:11], vcc
	s_cbranch_execz .LBB7_15
; %bb.17:                               ;   in Loop: Header=BB7_16 Depth=1
	v_and_b32_e32 v4, 0x7fffffff, v1
	v_mov_b32_e32 v5, v3
	v_cmp_gt_u64_e32 vcc, s[6:7], v[4:5]
                                        ; implicit-def: $vgpr4
	s_and_saveexec_b64 s[0:1], vcc
	s_xor_b64 s[16:17], exec, s[0:1]
	s_cbranch_execz .LBB7_25
; %bb.18:                               ;   in Loop: Header=BB7_16 Depth=1
	v_cmp_ne_u32_e32 vcc, 0, v1
	v_mov_b32_e32 v4, 0
	s_and_saveexec_b64 s[18:19], vcc
	s_cbranch_execz .LBB7_24
; %bb.19:                               ;   in Loop: Header=BB7_16 Depth=1
	v_bfe_u32 v18, v1, 23, 8
	v_sub_u32_e64 v5, s9, v18 clamp
	v_cmp_eq_u32_e32 vcc, 0, v18
	v_and_b32_e32 v4, 0x7fffff, v1
	v_cndmask_b32_e32 v19, v5, v11, vcc
	v_or_b32_e32 v14, 0x800000, v4
	v_add_u32_e32 v5, 20, v19
	v_cndmask_b32_e32 v4, v14, v4, vcc
	v_lshlrev_b64 v[14:15], v5, -1
	v_mov_b32_e32 v5, v3
	v_add_u32_e32 v16, 19, v19
	v_lshlrev_b64 v[16:17], v16, 1
	v_bfi_b32 v14, v14, 0, v4
	v_lshrrev_b64 v[4:5], v19, v[4:5]
	v_bfi_b32 v15, v15, 0, 0
	v_cmp_eq_u64_e64 s[0:1], v[14:15], v[16:17]
	v_add_u32_e32 v5, 0xffffff89, v18
	v_and_b32_e32 v16, 0x100000, v4
	v_mov_b32_e32 v17, v3
	v_cndmask_b32_e32 v5, v5, v13, vcc
	v_cmp_eq_u64_e32 vcc, 0, v[16:17]
	v_lshrrev_b32_e32 v14, 23, v4
	s_and_b64 vcc, vcc, s[0:1]
	v_add3_u32 v15, v5, v19, v14
	v_subbrev_co_u32_e32 v5, vcc, 0, v4, vcc
	v_add_u32_e32 v16, -1, v15
	v_and_b32_e32 v5, 0xfffff, v5
	v_add_u32_e32 v4, v5, v4
	v_mov_b32_e32 v5, v3
	v_cmp_ne_u32_e32 vcc, 0, v16
                                        ; implicit-def: $vgpr14
	s_and_saveexec_b64 s[0:1], vcc
	s_xor_b64 s[0:1], exec, s[0:1]
; %bb.20:                               ;   in Loop: Header=BB7_16 Depth=1
	v_and_b32_e32 v17, 0x1000000, v4
	v_mov_b32_e32 v18, v3
	v_cmp_eq_u64_e32 vcc, 0, v[17:18]
	v_bfe_u32 v14, v4, 24, 1
	v_lshrrev_b64 v[4:5], v14, v[4:5]
	v_cndmask_b32_e32 v14, v15, v16, vcc
; %bb.21:                               ;   in Loop: Header=BB7_16 Depth=1
	s_andn2_saveexec_b64 s[0:1], s[0:1]
; %bb.22:                               ;   in Loop: Header=BB7_16 Depth=1
	v_bfe_u32 v14, v4, 23, 1
; %bb.23:                               ;   in Loop: Header=BB7_16 Depth=1
	s_or_b64 exec, exec, s[0:1]
	v_lshrrev_b64 v[4:5], 20, v[4:5]
	v_cmp_gt_i32_e32 vcc, 16, v14
	v_cndmask_b32_e32 v5, 0, v5, vcc
	v_cndmask_b32_e32 v4, 7, v4, vcc
	v_and_b32_sdwa v1, v1, s13 dst_sel:DWORD dst_unused:UNUSED_PAD src0_sel:BYTE_3 src1_sel:DWORD
	v_min_i32_e32 v15, 15, v14
	v_cmp_eq_u64_e64 s[0:1], 0, v[4:5]
	v_cmp_eq_u32_e32 vcc, 0, v14
	v_lshl_or_b32 v1, v15, 3, v1
	v_and_or_b32 v1, v4, 7, v1
	s_and_b64 s[0:1], vcc, s[0:1]
	v_cndmask_b32_e64 v4, v1, 0, s[0:1]
.LBB7_24:                               ;   in Loop: Header=BB7_16 Depth=1
	s_or_b64 exec, exec, s[18:19]
                                        ; implicit-def: $vgpr1
.LBB7_25:                               ;   in Loop: Header=BB7_16 Depth=1
	s_andn2_saveexec_b64 s[0:1], s[16:17]
	s_cbranch_execz .LBB7_14
; %bb.26:                               ;   in Loop: Header=BB7_16 Depth=1
	v_or_b32_sdwa v4, v1, s21 dst_sel:DWORD dst_unused:UNUSED_PAD src0_sel:BYTE_3 src1_sel:DWORD
	s_branch .LBB7_14
.LBB7_27:
	s_endpgm
	.section	.rodata,"a",@progbits
	.p2align	6, 0x0
	.amdhsa_kernel _ZN4vllm42fused_add_rms_norm_static_fp8_quant_kernelIfLi8EN3c1015Float8_e4m3fnuzEEENSt9enable_ifIXooeqT0_Li0Entsr12_typeConvertIT_EE6existsEvE4typeEPT1_PS4_iS9_PKS4_PKffii
		.amdhsa_group_segment_fixed_size 68
		.amdhsa_private_segment_fixed_size 0
		.amdhsa_kernarg_size 320
		.amdhsa_user_sgpr_count 6
		.amdhsa_user_sgpr_private_segment_buffer 1
		.amdhsa_user_sgpr_dispatch_ptr 0
		.amdhsa_user_sgpr_queue_ptr 0
		.amdhsa_user_sgpr_kernarg_segment_ptr 1
		.amdhsa_user_sgpr_dispatch_id 0
		.amdhsa_user_sgpr_flat_scratch_init 0
		.amdhsa_user_sgpr_private_segment_size 0
		.amdhsa_uses_dynamic_stack 0
		.amdhsa_system_sgpr_private_segment_wavefront_offset 0
		.amdhsa_system_sgpr_workgroup_id_x 1
		.amdhsa_system_sgpr_workgroup_id_y 0
		.amdhsa_system_sgpr_workgroup_id_z 0
		.amdhsa_system_sgpr_workgroup_info 0
		.amdhsa_system_vgpr_workitem_id 0
		.amdhsa_next_free_vgpr 20
		.amdhsa_next_free_sgpr 23
		.amdhsa_reserve_vcc 1
		.amdhsa_reserve_flat_scratch 0
		.amdhsa_float_round_mode_32 0
		.amdhsa_float_round_mode_16_64 0
		.amdhsa_float_denorm_mode_32 3
		.amdhsa_float_denorm_mode_16_64 3
		.amdhsa_dx10_clamp 1
		.amdhsa_ieee_mode 1
		.amdhsa_fp16_overflow 0
		.amdhsa_exception_fp_ieee_invalid_op 0
		.amdhsa_exception_fp_denorm_src 0
		.amdhsa_exception_fp_ieee_div_zero 0
		.amdhsa_exception_fp_ieee_overflow 0
		.amdhsa_exception_fp_ieee_underflow 0
		.amdhsa_exception_fp_ieee_inexact 0
		.amdhsa_exception_int_div_zero 0
	.end_amdhsa_kernel
	.section	.text._ZN4vllm42fused_add_rms_norm_static_fp8_quant_kernelIfLi8EN3c1015Float8_e4m3fnuzEEENSt9enable_ifIXooeqT0_Li0Entsr12_typeConvertIT_EE6existsEvE4typeEPT1_PS4_iS9_PKS4_PKffii,"axG",@progbits,_ZN4vllm42fused_add_rms_norm_static_fp8_quant_kernelIfLi8EN3c1015Float8_e4m3fnuzEEENSt9enable_ifIXooeqT0_Li0Entsr12_typeConvertIT_EE6existsEvE4typeEPT1_PS4_iS9_PKS4_PKffii,comdat
.Lfunc_end7:
	.size	_ZN4vllm42fused_add_rms_norm_static_fp8_quant_kernelIfLi8EN3c1015Float8_e4m3fnuzEEENSt9enable_ifIXooeqT0_Li0Entsr12_typeConvertIT_EE6existsEvE4typeEPT1_PS4_iS9_PKS4_PKffii, .Lfunc_end7-_ZN4vllm42fused_add_rms_norm_static_fp8_quant_kernelIfLi8EN3c1015Float8_e4m3fnuzEEENSt9enable_ifIXooeqT0_Li0Entsr12_typeConvertIT_EE6existsEvE4typeEPT1_PS4_iS9_PKS4_PKffii
                                        ; -- End function
	.set _ZN4vllm42fused_add_rms_norm_static_fp8_quant_kernelIfLi8EN3c1015Float8_e4m3fnuzEEENSt9enable_ifIXooeqT0_Li0Entsr12_typeConvertIT_EE6existsEvE4typeEPT1_PS4_iS9_PKS4_PKffii.num_vgpr, 20
	.set _ZN4vllm42fused_add_rms_norm_static_fp8_quant_kernelIfLi8EN3c1015Float8_e4m3fnuzEEENSt9enable_ifIXooeqT0_Li0Entsr12_typeConvertIT_EE6existsEvE4typeEPT1_PS4_iS9_PKS4_PKffii.num_agpr, 0
	.set _ZN4vllm42fused_add_rms_norm_static_fp8_quant_kernelIfLi8EN3c1015Float8_e4m3fnuzEEENSt9enable_ifIXooeqT0_Li0Entsr12_typeConvertIT_EE6existsEvE4typeEPT1_PS4_iS9_PKS4_PKffii.numbered_sgpr, 23
	.set _ZN4vllm42fused_add_rms_norm_static_fp8_quant_kernelIfLi8EN3c1015Float8_e4m3fnuzEEENSt9enable_ifIXooeqT0_Li0Entsr12_typeConvertIT_EE6existsEvE4typeEPT1_PS4_iS9_PKS4_PKffii.num_named_barrier, 0
	.set _ZN4vllm42fused_add_rms_norm_static_fp8_quant_kernelIfLi8EN3c1015Float8_e4m3fnuzEEENSt9enable_ifIXooeqT0_Li0Entsr12_typeConvertIT_EE6existsEvE4typeEPT1_PS4_iS9_PKS4_PKffii.private_seg_size, 0
	.set _ZN4vllm42fused_add_rms_norm_static_fp8_quant_kernelIfLi8EN3c1015Float8_e4m3fnuzEEENSt9enable_ifIXooeqT0_Li0Entsr12_typeConvertIT_EE6existsEvE4typeEPT1_PS4_iS9_PKS4_PKffii.uses_vcc, 1
	.set _ZN4vllm42fused_add_rms_norm_static_fp8_quant_kernelIfLi8EN3c1015Float8_e4m3fnuzEEENSt9enable_ifIXooeqT0_Li0Entsr12_typeConvertIT_EE6existsEvE4typeEPT1_PS4_iS9_PKS4_PKffii.uses_flat_scratch, 0
	.set _ZN4vllm42fused_add_rms_norm_static_fp8_quant_kernelIfLi8EN3c1015Float8_e4m3fnuzEEENSt9enable_ifIXooeqT0_Li0Entsr12_typeConvertIT_EE6existsEvE4typeEPT1_PS4_iS9_PKS4_PKffii.has_dyn_sized_stack, 0
	.set _ZN4vllm42fused_add_rms_norm_static_fp8_quant_kernelIfLi8EN3c1015Float8_e4m3fnuzEEENSt9enable_ifIXooeqT0_Li0Entsr12_typeConvertIT_EE6existsEvE4typeEPT1_PS4_iS9_PKS4_PKffii.has_recursion, 0
	.set _ZN4vllm42fused_add_rms_norm_static_fp8_quant_kernelIfLi8EN3c1015Float8_e4m3fnuzEEENSt9enable_ifIXooeqT0_Li0Entsr12_typeConvertIT_EE6existsEvE4typeEPT1_PS4_iS9_PKS4_PKffii.has_indirect_call, 0
	.section	.AMDGPU.csdata,"",@progbits
; Kernel info:
; codeLenInByte = 1764
; TotalNumSgprs: 27
; NumVgprs: 20
; ScratchSize: 0
; MemoryBound: 0
; FloatMode: 240
; IeeeMode: 1
; LDSByteSize: 68 bytes/workgroup (compile time only)
; SGPRBlocks: 3
; VGPRBlocks: 4
; NumSGPRsForWavesPerEU: 27
; NumVGPRsForWavesPerEU: 20
; Occupancy: 10
; WaveLimiterHint : 0
; COMPUTE_PGM_RSRC2:SCRATCH_EN: 0
; COMPUTE_PGM_RSRC2:USER_SGPR: 6
; COMPUTE_PGM_RSRC2:TRAP_HANDLER: 0
; COMPUTE_PGM_RSRC2:TGID_X_EN: 1
; COMPUTE_PGM_RSRC2:TGID_Y_EN: 0
; COMPUTE_PGM_RSRC2:TGID_Z_EN: 0
; COMPUTE_PGM_RSRC2:TIDIG_COMP_CNT: 0
	.section	.text._ZN4vllm42fused_add_rms_norm_static_fp8_quant_kernelIN3c104HalfELi8ENS1_13Float8_e4m3fnEEENSt9enable_ifIXaagtT0_Li0Esr12_typeConvertIT_EE6existsEvE4typeEPT1_PS5_iSA_PKS5_PKffii,"axG",@progbits,_ZN4vllm42fused_add_rms_norm_static_fp8_quant_kernelIN3c104HalfELi8ENS1_13Float8_e4m3fnEEENSt9enable_ifIXaagtT0_Li0Esr12_typeConvertIT_EE6existsEvE4typeEPT1_PS5_iSA_PKS5_PKffii,comdat
	.protected	_ZN4vllm42fused_add_rms_norm_static_fp8_quant_kernelIN3c104HalfELi8ENS1_13Float8_e4m3fnEEENSt9enable_ifIXaagtT0_Li0Esr12_typeConvertIT_EE6existsEvE4typeEPT1_PS5_iSA_PKS5_PKffii ; -- Begin function _ZN4vllm42fused_add_rms_norm_static_fp8_quant_kernelIN3c104HalfELi8ENS1_13Float8_e4m3fnEEENSt9enable_ifIXaagtT0_Li0Esr12_typeConvertIT_EE6existsEvE4typeEPT1_PS5_iSA_PKS5_PKffii
	.globl	_ZN4vllm42fused_add_rms_norm_static_fp8_quant_kernelIN3c104HalfELi8ENS1_13Float8_e4m3fnEEENSt9enable_ifIXaagtT0_Li0Esr12_typeConvertIT_EE6existsEvE4typeEPT1_PS5_iSA_PKS5_PKffii
	.p2align	8
	.type	_ZN4vllm42fused_add_rms_norm_static_fp8_quant_kernelIN3c104HalfELi8ENS1_13Float8_e4m3fnEEENSt9enable_ifIXaagtT0_Li0Esr12_typeConvertIT_EE6existsEvE4typeEPT1_PS5_iSA_PKS5_PKffii,@function
_ZN4vllm42fused_add_rms_norm_static_fp8_quant_kernelIN3c104HalfELi8ENS1_13Float8_e4m3fnEEENSt9enable_ifIXaagtT0_Li0Esr12_typeConvertIT_EE6existsEvE4typeEPT1_PS5_iSA_PKS5_PKffii: ; @_ZN4vllm42fused_add_rms_norm_static_fp8_quant_kernelIN3c104HalfELi8ENS1_13Float8_e4m3fnEEENSt9enable_ifIXaagtT0_Li0Esr12_typeConvertIT_EE6existsEvE4typeEPT1_PS5_iSA_PKS5_PKffii
; %bb.0:
	s_load_dword s20, s[4:5], 0x38
	s_load_dwordx2 s[12:13], s[4:5], 0x18
                                        ; implicit-def: $sgpr7
	s_waitcnt lgkmcnt(0)
	s_ashr_i32 s0, s20, 31
	s_lshr_b32 s0, s0, 29
	s_add_i32 s0, s20, s0
	s_ashr_i32 s18, s0, 3
	v_cmp_gt_i32_e64 s[0:1], s18, v0
	v_cmp_le_i32_e32 vcc, s18, v0
	s_and_saveexec_b64 s[2:3], vcc
	s_xor_b64 s[2:3], exec, s[2:3]
	s_cbranch_execz .LBB8_2
; %bb.1:
	s_load_dword s7, s[4:5], 0x4c
	s_waitcnt lgkmcnt(0)
	s_and_b32 s7, s7, 0xffff
.LBB8_2:
	s_or_saveexec_b64 s[2:3], s[2:3]
	s_load_dwordx2 s[14:15], s[4:5], 0x0
	s_load_dwordx4 s[8:11], s[4:5], 0x20
	v_mov_b32_e32 v1, 0
	v_mov_b32_e32 v9, s7
	s_mul_i32 s19, s18, s6
	s_xor_b64 exec, exec, s[2:3]
	s_cbranch_execz .LBB8_6
; %bb.3:
	s_load_dword s7, s[4:5], 0x10
	s_load_dword s21, s[4:5], 0x4c
	s_load_dwordx2 s[16:17], s[4:5], 0x8
	v_mov_b32_e32 v1, 0
	v_mov_b32_e32 v3, s13
	s_waitcnt lgkmcnt(0)
	s_ashr_i32 s22, s7, 31
	s_lshr_b32 s22, s22, 29
	s_add_i32 s7, s7, s22
	s_ashr_i32 s22, s7, 3
	s_and_b32 s21, s21, 0xffff
	s_mul_i32 s22, s22, s6
	s_mov_b64 s[6:7], 0
	v_mov_b32_e32 v2, s17
	v_mov_b32_e32 v4, v0
.LBB8_4:                                ; =>This Inner Loop Header: Depth=1
	v_add_u32_e32 v5, s22, v4
	v_ashrrev_i32_e32 v6, 31, v5
	v_add_u32_e32 v7, s19, v4
	v_lshlrev_b64 v[5:6], 4, v[5:6]
	v_ashrrev_i32_e32 v8, 31, v7
	v_lshlrev_b64 v[7:8], 4, v[7:8]
	v_add_co_u32_e32 v13, vcc, s16, v5
	v_addc_co_u32_e32 v14, vcc, v2, v6, vcc
	v_add_co_u32_e32 v15, vcc, s12, v7
	v_addc_co_u32_e32 v16, vcc, v3, v8, vcc
	global_load_dwordx4 v[5:8], v[13:14], off
	global_load_dwordx4 v[9:12], v[15:16], off
	v_add_u32_e32 v4, s21, v4
	v_cmp_le_i32_e32 vcc, s18, v4
	s_or_b64 s[6:7], vcc, s[6:7]
	s_waitcnt vmcnt(0)
	v_pk_add_f16 v5, v5, v9
	v_pk_add_f16 v6, v6, v10
	;; [unrolled: 1-line block ×3, first 2 shown]
	v_cvt_f32_f16_sdwa v9, v5 dst_sel:DWORD dst_unused:UNUSED_PAD src0_sel:WORD_1
	v_cvt_f32_f16_sdwa v10, v6 dst_sel:DWORD dst_unused:UNUSED_PAD src0_sel:WORD_1
	v_pk_add_f16 v8, v8, v12
	v_cvt_f32_f16_sdwa v11, v7 dst_sel:DWORD dst_unused:UNUSED_PAD src0_sel:WORD_1
	v_cvt_f32_f16_sdwa v12, v8 dst_sel:DWORD dst_unused:UNUSED_PAD src0_sel:WORD_1
	v_mul_f32_e32 v9, v9, v9
	v_mul_f32_e32 v10, v10, v10
	global_store_dwordx4 v[15:16], v[5:8], off
	v_mul_f32_e32 v11, v11, v11
	v_fma_mix_f32 v5, v5, v5, v9 op_sel_hi:[1,1,0]
	v_fma_mix_f32 v6, v6, v6, v10 op_sel_hi:[1,1,0]
	v_mul_f32_e32 v12, v12, v12
	v_fma_mix_f32 v7, v7, v7, v11 op_sel_hi:[1,1,0]
	v_add_f32_e32 v5, v5, v6
	v_fma_mix_f32 v8, v8, v8, v12 op_sel_hi:[1,1,0]
	v_add_f32_e32 v5, v5, v7
	v_add_f32_e32 v5, v5, v8
	;; [unrolled: 1-line block ×3, first 2 shown]
	s_andn2_b64 exec, exec, s[6:7]
	s_cbranch_execnz .LBB8_4
; %bb.5:
	s_or_b64 exec, exec, s[6:7]
	v_mov_b32_e32 v9, s21
.LBB8_6:
	s_or_b64 exec, exec, s[2:3]
	v_mbcnt_lo_u32_b32 v2, -1, 0
	v_mbcnt_hi_u32_b32 v2, -1, v2
	v_and_b32_e32 v3, 63, v2
	v_cmp_ne_u32_e32 vcc, 63, v3
	v_addc_co_u32_e32 v4, vcc, 0, v2, vcc
	v_lshlrev_b32_e32 v4, 2, v4
	ds_bpermute_b32 v4, v4, v1
	v_and_b32_e32 v5, 0x3c0, v0
	v_sub_u32_e64 v5, v9, v5 clamp
	v_add_u32_e32 v6, 1, v2
	v_cmp_lt_u32_e32 vcc, v6, v5
	s_waitcnt lgkmcnt(0)
	v_add_f32_e32 v4, v1, v4
	v_cndmask_b32_e32 v1, v1, v4, vcc
	v_cmp_gt_u32_e32 vcc, 62, v3
	v_cndmask_b32_e64 v4, 0, 2, vcc
	v_add_lshl_u32 v4, v4, v2, 2
	ds_bpermute_b32 v4, v4, v1
	v_add_u32_e32 v6, 2, v2
	v_cmp_lt_u32_e32 vcc, v6, v5
	v_add_u32_e32 v6, 4, v2
	s_waitcnt lgkmcnt(0)
	v_add_f32_e32 v4, v1, v4
	v_cndmask_b32_e32 v1, v1, v4, vcc
	v_cmp_gt_u32_e32 vcc, 60, v3
	v_cndmask_b32_e64 v4, 0, 4, vcc
	v_add_lshl_u32 v4, v4, v2, 2
	ds_bpermute_b32 v4, v4, v1
	v_cmp_lt_u32_e32 vcc, v6, v5
	v_add_u32_e32 v6, 8, v2
	s_waitcnt lgkmcnt(0)
	v_add_f32_e32 v4, v1, v4
	v_cndmask_b32_e32 v1, v1, v4, vcc
	v_cmp_gt_u32_e32 vcc, 56, v3
	v_cndmask_b32_e64 v4, 0, 8, vcc
	v_add_lshl_u32 v4, v4, v2, 2
	ds_bpermute_b32 v4, v4, v1
	;; [unrolled: 9-line block ×3, first 2 shown]
	v_add_u32_e32 v4, 16, v2
	v_cmp_lt_u32_e32 vcc, v4, v5
	s_waitcnt lgkmcnt(0)
	v_add_f32_e32 v3, v1, v3
	v_cndmask_b32_e32 v3, v1, v3, vcc
	v_lshlrev_b32_e32 v1, 2, v2
	v_or_b32_e32 v4, 0x80, v1
	ds_bpermute_b32 v4, v4, v3
	v_cmp_lt_u32_e32 vcc, v6, v5
	s_waitcnt lgkmcnt(0)
	v_add_f32_e32 v4, v3, v4
	v_cndmask_b32_e32 v3, v3, v4, vcc
	v_cmp_eq_u32_e32 vcc, 0, v2
	s_and_saveexec_b64 s[2:3], vcc
; %bb.7:
	v_lshrrev_b32_e32 v4, 4, v0
	v_and_b32_e32 v4, 60, v4
	ds_write_b32 v4, v3
; %bb.8:
	s_or_b64 exec, exec, s[2:3]
	v_cmp_gt_u32_e32 vcc, 16, v0
	s_waitcnt vmcnt(0) lgkmcnt(0)
	s_barrier
	s_and_saveexec_b64 s[6:7], vcc
	s_cbranch_execz .LBB8_10
; %bb.9:
	ds_read_b32 v3, v1
	v_and_b32_e32 v4, 15, v2
	v_cmp_ne_u32_e32 vcc, 15, v4
	v_addc_co_u32_e32 v5, vcc, 0, v2, vcc
	v_lshlrev_b32_e32 v5, 2, v5
	s_waitcnt lgkmcnt(0)
	ds_bpermute_b32 v5, v5, v3
	v_add_u32_e32 v6, 63, v9
	v_lshrrev_b32_e32 v6, 6, v6
	v_add_u32_e32 v7, 1, v4
	v_cmp_gt_u32_e64 s[2:3], 14, v4
	s_waitcnt lgkmcnt(0)
	v_add_f32_e32 v5, v3, v5
	v_cmp_lt_u32_e32 vcc, v7, v6
	v_cndmask_b32_e64 v7, 0, 2, s[2:3]
	v_cndmask_b32_e32 v5, v3, v5, vcc
	v_add_lshl_u32 v7, v7, v2, 2
	ds_bpermute_b32 v7, v7, v5
	v_add_u32_e32 v8, 2, v4
	v_cmp_lt_u32_e64 s[2:3], v8, v6
	v_or_b32_e32 v1, 32, v1
	s_waitcnt lgkmcnt(0)
	v_add_f32_e32 v7, v5, v7
	v_cndmask_b32_e64 v5, v5, v7, s[2:3]
	v_cmp_gt_u32_e64 s[2:3], 12, v4
	v_cndmask_b32_e64 v7, 0, 4, s[2:3]
	v_add_lshl_u32 v2, v7, v2, 2
	ds_bpermute_b32 v2, v2, v5
	v_add_u32_e32 v7, 4, v4
	v_cmp_lt_u32_e64 s[2:3], v7, v6
	v_add_u32_e32 v4, 8, v4
	s_waitcnt lgkmcnt(0)
	v_add_f32_e32 v2, v5, v2
	v_cndmask_b32_e64 v2, v5, v2, s[2:3]
	ds_bpermute_b32 v1, v1, v2
	v_cmp_lt_u32_e64 s[2:3], v4, v6
	s_waitcnt lgkmcnt(0)
	v_add_f32_e32 v1, v2, v1
	v_cndmask_b32_e64 v1, v2, v1, s[2:3]
	v_cndmask_b32_e32 v3, v3, v1, vcc
.LBB8_10:
	s_or_b64 exec, exec, s[6:7]
	v_cmp_eq_u32_e32 vcc, 0, v0
	s_and_saveexec_b64 s[2:3], vcc
	s_cbranch_execz .LBB8_12
; %bb.11:
	v_cvt_f32_i32_e32 v1, s20
	s_load_dword s4, s[4:5], 0x30
	s_mov_b32 s5, 0x800000
	v_div_scale_f32 v2, s[6:7], v1, v1, v3
	v_div_scale_f32 v4, vcc, v3, v1, v3
	v_rcp_f32_e32 v5, v2
	v_fma_f32 v6, -v2, v5, 1.0
	v_fmac_f32_e32 v5, v6, v5
	v_mul_f32_e32 v6, v4, v5
	v_fma_f32 v7, -v2, v6, v4
	v_fmac_f32_e32 v6, v7, v5
	v_fma_f32 v2, -v2, v6, v4
	v_div_fmas_f32 v2, v2, v5, v6
	v_div_fixup_f32 v1, v2, v1, v3
	s_waitcnt lgkmcnt(0)
	v_add_f32_e32 v1, s4, v1
	v_mul_f32_e32 v2, 0x4b800000, v1
	v_cmp_gt_f32_e32 vcc, s5, v1
	v_cndmask_b32_e32 v1, v1, v2, vcc
	v_rsq_f32_e32 v1, v1
	v_mul_f32_e32 v2, 0x45800000, v1
	v_cndmask_b32_e32 v1, v1, v2, vcc
	v_mov_b32_e32 v2, 0
	ds_write_b32 v2, v1 offset:64
.LBB8_12:
	s_or_b64 exec, exec, s[2:3]
	s_waitcnt lgkmcnt(0)
	s_barrier
	s_and_saveexec_b64 s[2:3], s[0:1]
	s_cbranch_execz .LBB8_159
; %bb.13:
	s_load_dword s10, s[10:11], 0x0
	v_mov_b32_e32 v11, 0
	v_lshlrev_b32_e32 v3, 4, v0
	ds_read_b32 v24, v11 offset:64
	v_mov_b32_e32 v4, s9
	s_waitcnt lgkmcnt(0)
	v_div_scale_f32 v1, s[0:1], s10, s10, 1.0
	v_div_scale_f32 v2, vcc, 1.0, s10, 1.0
	v_mov_b32_e32 v10, v11
	v_lshlrev_b64 v[14:15], 4, v[9:10]
	v_add_lshl_u32 v20, v0, s19, 3
	v_lshlrev_b32_e32 v21, 3, v9
	s_mov_b64 s[2:3], 0
	v_mov_b32_e32 v22, s13
	s_mov_b64 s[4:5], 0x7f800000
	s_movk_i32 s13, 0x80
	s_mov_b64 s[6:7], 0x43e00001
	s_movk_i32 s20, 0x79
	s_movk_i32 s21, 0x7f
	v_mov_b32_e32 v23, 0x78
	v_rcp_f32_e32 v5, v1
	v_mov_b32_e32 v26, 0xffffff89
	v_fma_f32 v6, -v1, v5, 1.0
	v_fmac_f32_e32 v5, v6, v5
	v_mul_f32_e32 v6, v2, v5
	v_fma_f32 v7, -v1, v6, v2
	v_fmac_f32_e32 v6, v7, v5
	v_fma_f32 v1, -v1, v6, v2
	v_div_fmas_f32 v1, v1, v5, v6
	v_add_co_u32_e32 v2, vcc, s8, v3
	v_addc_co_u32_e32 v3, vcc, 0, v4, vcc
	v_add_co_u32_e32 v12, vcc, 8, v2
	v_addc_co_u32_e32 v13, vcc, 0, v3, vcc
	v_div_fixup_f32 v25, v1, s10, 1.0
	s_branch .LBB8_15
.LBB8_14:                               ;   in Loop: Header=BB8_15 Depth=1
	s_or_b64 exec, exec, s[0:1]
	v_add_u32_e32 v0, v0, v9
	v_cmp_le_i32_e32 vcc, s18, v0
	s_or_b64 s[2:3], vcc, s[2:3]
	v_add_co_u32_e32 v12, vcc, v12, v14
	v_add_u32_e32 v20, v20, v21
	v_addc_co_u32_e32 v13, vcc, v13, v15, vcc
	global_store_byte v[16:17], v2, off offset:7
	s_andn2_b64 exec, exec, s[2:3]
	s_cbranch_execz .LBB8_159
.LBB8_15:                               ; =>This Inner Loop Header: Depth=1
	v_add_u32_e32 v1, s19, v0
	v_ashrrev_i32_e32 v2, 31, v1
	v_lshlrev_b64 v[1:2], 4, v[1:2]
                                        ; implicit-def: $vgpr18
	v_add_co_u32_e32 v16, vcc, s12, v1
	v_addc_co_u32_e32 v17, vcc, v22, v2, vcc
	global_load_dwordx4 v[1:4], v[16:17], off
	global_load_dwordx4 v[5:8], v[12:13], off offset:-8
	s_waitcnt vmcnt(1)
	v_fma_mixlo_f16 v10, v24, v1, 0 op_sel_hi:[0,1,0]
	v_fma_mixhi_f16 v10, v24, v1, 0 op_sel:[0,1,0] op_sel_hi:[0,1,0]
	s_waitcnt vmcnt(0)
	v_pk_mul_f16 v1, v10, v5
	v_cvt_f32_f16_e32 v5, v1
	v_mul_f32_e32 v5, v25, v5
	v_min_f32_e32 v5, 0x43e00000, v5
	v_max_f32_e32 v16, 0xc3e00000, v5
	v_and_b32_e32 v10, 0x7f800000, v16
	v_cmp_ne_u64_e32 vcc, s[4:5], v[10:11]
	s_and_saveexec_b64 s[0:1], vcc
	s_xor_b64 s[8:9], exec, s[0:1]
	s_cbranch_execz .LBB8_31
; %bb.16:                               ;   in Loop: Header=BB8_15 Depth=1
	v_and_b32_e32 v10, 0x7fffffff, v16
	v_cmp_gt_u64_e32 vcc, s[6:7], v[10:11]
	v_and_b32_sdwa v5, v16, s13 dst_sel:DWORD dst_unused:UNUSED_PAD src0_sel:BYTE_3 src1_sel:DWORD
                                        ; implicit-def: $vgpr18
	s_and_saveexec_b64 s[0:1], vcc
	s_xor_b64 s[10:11], exec, s[0:1]
	s_cbranch_execz .LBB8_28
; %bb.17:                               ;   in Loop: Header=BB8_15 Depth=1
	v_cmp_ne_u32_e32 vcc, 0, v16
	v_mov_b32_e32 v18, 0
	s_and_saveexec_b64 s[16:17], vcc
	s_cbranch_execz .LBB8_27
; %bb.18:                               ;   in Loop: Header=BB8_15 Depth=1
	v_bfe_u32 v27, v16, 23, 8
	v_and_b32_e32 v10, 0x7fffff, v16
	v_sub_u32_e64 v16, s20, v27 clamp
	v_cmp_eq_u32_e32 vcc, 0, v27
	v_cndmask_b32_e32 v28, v16, v23, vcc
	v_or_b32_e32 v18, 0x800000, v10
	v_add_u32_e32 v16, 20, v28
	v_lshlrev_b64 v[16:17], v16, -1
	v_cndmask_b32_e32 v10, v18, v10, vcc
	v_add_u32_e32 v18, 19, v28
	v_lshlrev_b64 v[18:19], v18, 1
	v_bfi_b32 v17, v17, 0, 0
	v_bfi_b32 v16, v16, 0, v10
	v_cmp_eq_u64_e64 s[0:1], v[16:17], v[18:19]
	v_lshrrev_b64 v[16:17], v28, v[10:11]
	v_add_u32_e32 v10, 0xffffff88, v27
	v_cndmask_b32_e32 v10, v10, v26, vcc
	v_lshrrev_b32_e32 v17, 23, v16
	v_add3_u32 v18, v10, v28, v17
	v_and_b32_e32 v10, 0x100000, v16
	v_cmp_eq_u64_e32 vcc, 0, v[10:11]
	v_add_u32_e32 v27, -1, v18
	s_and_b64 vcc, vcc, s[0:1]
	v_subbrev_co_u32_e32 v10, vcc, 0, v16, vcc
	v_and_b32_e32 v10, 0xfffff, v10
	v_add_u32_e32 v10, v10, v16
	v_cmp_ne_u32_e32 vcc, 0, v27
                                        ; implicit-def: $vgpr16_vgpr17
                                        ; implicit-def: $vgpr19
	s_and_saveexec_b64 s[0:1], vcc
	s_xor_b64 s[0:1], exec, s[0:1]
; %bb.19:                               ;   in Loop: Header=BB8_15 Depth=1
	v_and_b32_e32 v28, 0x1000000, v10
	v_mov_b32_e32 v29, v11
	v_cmp_eq_u64_e32 vcc, 0, v[28:29]
	v_bfe_u32 v16, v10, 24, 1
	v_lshrrev_b64 v[16:17], v16, v[10:11]
	v_cndmask_b32_e32 v19, v18, v27, vcc
; %bb.20:                               ;   in Loop: Header=BB8_15 Depth=1
	s_andn2_saveexec_b64 s[0:1], s[0:1]
; %bb.21:                               ;   in Loop: Header=BB8_15 Depth=1
	v_mov_b32_e32 v17, v11
	v_bfe_u32 v19, v10, 23, 1
	v_mov_b32_e32 v16, v10
; %bb.22:                               ;   in Loop: Header=BB8_15 Depth=1
	s_or_b64 exec, exec, s[0:1]
	v_lshrrev_b64 v[16:17], 20, v[16:17]
	v_cmp_gt_i32_e32 vcc, 16, v19
	v_cndmask_b32_e32 v17, 0, v17, vcc
	v_cndmask_b32_e32 v16, 7, v16, vcc
	v_cmp_ne_u64_e32 vcc, 0, v[16:17]
	v_cmp_ne_u32_e64 s[0:1], 0, v19
	s_or_b64 s[0:1], s[0:1], vcc
                                        ; implicit-def: $vgpr18
	s_and_saveexec_b64 s[22:23], s[0:1]
	s_xor_b64 s[0:1], exec, s[22:23]
; %bb.23:                               ;   in Loop: Header=BB8_15 Depth=1
	v_min_i32_e32 v10, 15, v19
	v_lshl_or_b32 v5, v10, 3, v5
	v_and_or_b32 v18, v16, 7, v5
                                        ; implicit-def: $vgpr5
; %bb.24:                               ;   in Loop: Header=BB8_15 Depth=1
	s_andn2_saveexec_b64 s[0:1], s[0:1]
; %bb.25:                               ;   in Loop: Header=BB8_15 Depth=1
	v_mov_b32_e32 v18, v5
; %bb.26:                               ;   in Loop: Header=BB8_15 Depth=1
	s_or_b64 exec, exec, s[0:1]
.LBB8_27:                               ;   in Loop: Header=BB8_15 Depth=1
	s_or_b64 exec, exec, s[16:17]
                                        ; implicit-def: $vgpr5
.LBB8_28:                               ;   in Loop: Header=BB8_15 Depth=1
	s_andn2_saveexec_b64 s[0:1], s[10:11]
; %bb.29:                               ;   in Loop: Header=BB8_15 Depth=1
	v_or_b32_e32 v18, 0x7e, v5
; %bb.30:                               ;   in Loop: Header=BB8_15 Depth=1
	s_or_b64 exec, exec, s[0:1]
                                        ; implicit-def: $vgpr16
.LBB8_31:                               ;   in Loop: Header=BB8_15 Depth=1
	s_andn2_saveexec_b64 s[0:1], s[8:9]
; %bb.32:                               ;   in Loop: Header=BB8_15 Depth=1
	v_or_b32_sdwa v18, v16, s21 dst_sel:DWORD dst_unused:UNUSED_PAD src0_sel:BYTE_3 src1_sel:DWORD
; %bb.33:                               ;   in Loop: Header=BB8_15 Depth=1
	s_or_b64 exec, exec, s[0:1]
	v_cvt_f32_f16_sdwa v1, v1 dst_sel:DWORD dst_unused:UNUSED_PAD src0_sel:WORD_1
	v_ashrrev_i32_e32 v5, 31, v20
	v_mov_b32_e32 v10, s15
	v_add_co_u32_e32 v16, vcc, s14, v20
	v_mul_f32_e32 v1, v25, v1
	v_min_f32_e32 v1, 0x43e00000, v1
	v_addc_co_u32_e32 v17, vcc, v10, v5, vcc
	v_max_f32_e32 v5, 0xc3e00000, v1
	v_and_b32_e32 v10, 0x7f800000, v5
	v_cmp_ne_u64_e32 vcc, s[4:5], v[10:11]
	global_store_byte v[16:17], v18, off
                                        ; implicit-def: $vgpr19
	s_and_saveexec_b64 s[0:1], vcc
	s_xor_b64 s[8:9], exec, s[0:1]
	s_cbranch_execz .LBB8_49
; %bb.34:                               ;   in Loop: Header=BB8_15 Depth=1
	v_and_b32_e32 v10, 0x7fffffff, v5
	v_cmp_gt_u64_e32 vcc, s[6:7], v[10:11]
	v_and_b32_sdwa v1, v5, s13 dst_sel:DWORD dst_unused:UNUSED_PAD src0_sel:BYTE_3 src1_sel:DWORD
                                        ; implicit-def: $vgpr19
	s_and_saveexec_b64 s[0:1], vcc
	s_xor_b64 s[10:11], exec, s[0:1]
	s_cbranch_execz .LBB8_46
; %bb.35:                               ;   in Loop: Header=BB8_15 Depth=1
	v_cmp_ne_u32_e32 vcc, 0, v5
	v_mov_b32_e32 v19, 0
	s_and_saveexec_b64 s[16:17], vcc
	s_cbranch_execz .LBB8_45
; %bb.36:                               ;   in Loop: Header=BB8_15 Depth=1
	v_and_b32_e32 v10, 0x7fffff, v5
	v_bfe_u32 v5, v5, 23, 8
	v_sub_u32_e64 v18, s20, v5 clamp
	v_cmp_eq_u32_e32 vcc, 0, v5
	v_cndmask_b32_e32 v29, v18, v23, vcc
	v_or_b32_e32 v27, 0x800000, v10
	v_add_u32_e32 v18, 20, v29
	v_lshlrev_b64 v[18:19], v18, -1
	v_cndmask_b32_e32 v10, v27, v10, vcc
	v_add_u32_e32 v27, 19, v29
	v_lshlrev_b64 v[27:28], v27, 1
	v_bfi_b32 v19, v19, 0, 0
	v_bfi_b32 v18, v18, 0, v10
	v_cmp_eq_u64_e64 s[0:1], v[18:19], v[27:28]
	v_lshrrev_b64 v[18:19], v29, v[10:11]
	v_add_u32_e32 v5, 0xffffff88, v5
	v_cndmask_b32_e32 v5, v5, v26, vcc
	v_lshrrev_b32_e32 v10, 23, v18
	v_add3_u32 v27, v5, v29, v10
	v_and_b32_e32 v10, 0x100000, v18
	v_cmp_eq_u64_e32 vcc, 0, v[10:11]
	v_add_u32_e32 v28, -1, v27
	s_and_b64 vcc, vcc, s[0:1]
	v_subbrev_co_u32_e32 v5, vcc, 0, v18, vcc
	v_and_b32_e32 v5, 0xfffff, v5
	v_add_u32_e32 v10, v5, v18
	v_cmp_ne_u32_e32 vcc, 0, v28
                                        ; implicit-def: $vgpr18_vgpr19
                                        ; implicit-def: $vgpr5
	s_and_saveexec_b64 s[0:1], vcc
	s_xor_b64 s[0:1], exec, s[0:1]
; %bb.37:                               ;   in Loop: Header=BB8_15 Depth=1
	v_and_b32_e32 v29, 0x1000000, v10
	v_mov_b32_e32 v30, v11
	v_bfe_u32 v5, v10, 24, 1
	v_cmp_eq_u64_e32 vcc, 0, v[29:30]
	v_lshrrev_b64 v[18:19], v5, v[10:11]
	v_cndmask_b32_e32 v5, v27, v28, vcc
; %bb.38:                               ;   in Loop: Header=BB8_15 Depth=1
	s_andn2_saveexec_b64 s[0:1], s[0:1]
; %bb.39:                               ;   in Loop: Header=BB8_15 Depth=1
	v_mov_b32_e32 v19, v11
	v_bfe_u32 v5, v10, 23, 1
	v_mov_b32_e32 v18, v10
; %bb.40:                               ;   in Loop: Header=BB8_15 Depth=1
	s_or_b64 exec, exec, s[0:1]
	v_lshrrev_b64 v[18:19], 20, v[18:19]
	v_cmp_gt_i32_e32 vcc, 16, v5
	v_cndmask_b32_e32 v19, 0, v19, vcc
	v_cndmask_b32_e32 v18, 7, v18, vcc
	v_cmp_ne_u64_e32 vcc, 0, v[18:19]
	v_cmp_ne_u32_e64 s[0:1], 0, v5
	s_or_b64 s[0:1], s[0:1], vcc
                                        ; implicit-def: $vgpr19
	s_and_saveexec_b64 s[22:23], s[0:1]
	s_xor_b64 s[0:1], exec, s[22:23]
; %bb.41:                               ;   in Loop: Header=BB8_15 Depth=1
	v_min_i32_e32 v5, 15, v5
	v_lshl_or_b32 v1, v5, 3, v1
	v_and_or_b32 v19, v18, 7, v1
                                        ; implicit-def: $vgpr1
; %bb.42:                               ;   in Loop: Header=BB8_15 Depth=1
	s_andn2_saveexec_b64 s[0:1], s[0:1]
; %bb.43:                               ;   in Loop: Header=BB8_15 Depth=1
	v_mov_b32_e32 v19, v1
; %bb.44:                               ;   in Loop: Header=BB8_15 Depth=1
	s_or_b64 exec, exec, s[0:1]
.LBB8_45:                               ;   in Loop: Header=BB8_15 Depth=1
	s_or_b64 exec, exec, s[16:17]
                                        ; implicit-def: $vgpr1
.LBB8_46:                               ;   in Loop: Header=BB8_15 Depth=1
	s_andn2_saveexec_b64 s[0:1], s[10:11]
; %bb.47:                               ;   in Loop: Header=BB8_15 Depth=1
	v_or_b32_e32 v19, 0x7e, v1
; %bb.48:                               ;   in Loop: Header=BB8_15 Depth=1
	s_or_b64 exec, exec, s[0:1]
                                        ; implicit-def: $vgpr5
.LBB8_49:                               ;   in Loop: Header=BB8_15 Depth=1
	s_andn2_saveexec_b64 s[0:1], s[8:9]
; %bb.50:                               ;   in Loop: Header=BB8_15 Depth=1
	v_or_b32_sdwa v19, v5, s21 dst_sel:DWORD dst_unused:UNUSED_PAD src0_sel:BYTE_3 src1_sel:DWORD
; %bb.51:                               ;   in Loop: Header=BB8_15 Depth=1
	s_or_b64 exec, exec, s[0:1]
	v_fma_mixlo_f16 v1, v24, v2, 0 op_sel_hi:[0,1,0]
	v_fma_mixhi_f16 v1, v24, v2, 0 op_sel:[0,1,0] op_sel_hi:[0,1,0]
	v_pk_mul_f16 v5, v1, v6
	v_cvt_f32_f16_e32 v1, v5
	global_store_byte v[16:17], v19, off offset:1
                                        ; implicit-def: $vgpr2
	v_mul_f32_e32 v1, v25, v1
	v_min_f32_e32 v1, 0x43e00000, v1
	v_max_f32_e32 v1, 0xc3e00000, v1
	v_and_b32_e32 v10, 0x7f800000, v1
	v_cmp_ne_u64_e32 vcc, s[4:5], v[10:11]
	s_and_saveexec_b64 s[0:1], vcc
	s_xor_b64 s[8:9], exec, s[0:1]
	s_cbranch_execz .LBB8_67
; %bb.52:                               ;   in Loop: Header=BB8_15 Depth=1
	v_and_b32_e32 v10, 0x7fffffff, v1
	v_cmp_gt_u64_e32 vcc, s[6:7], v[10:11]
	v_and_b32_sdwa v6, v1, s13 dst_sel:DWORD dst_unused:UNUSED_PAD src0_sel:BYTE_3 src1_sel:DWORD
                                        ; implicit-def: $vgpr2
	s_and_saveexec_b64 s[0:1], vcc
	s_xor_b64 s[10:11], exec, s[0:1]
	s_cbranch_execz .LBB8_64
; %bb.53:                               ;   in Loop: Header=BB8_15 Depth=1
	v_cmp_ne_u32_e32 vcc, 0, v1
	v_mov_b32_e32 v2, 0
	s_and_saveexec_b64 s[16:17], vcc
	s_cbranch_execz .LBB8_63
; %bb.54:                               ;   in Loop: Header=BB8_15 Depth=1
	v_bfe_u32 v27, v1, 23, 8
	v_and_b32_e32 v10, 0x7fffff, v1
	v_sub_u32_e64 v1, s20, v27 clamp
	v_cmp_eq_u32_e32 vcc, 0, v27
	v_cndmask_b32_e32 v28, v1, v23, vcc
	v_or_b32_e32 v18, 0x800000, v10
	v_add_u32_e32 v1, 20, v28
	v_lshlrev_b64 v[1:2], v1, -1
	v_cndmask_b32_e32 v10, v18, v10, vcc
	v_add_u32_e32 v18, 19, v28
	v_lshlrev_b64 v[18:19], v18, 1
	v_bfi_b32 v2, v2, 0, 0
	v_bfi_b32 v1, v1, 0, v10
	v_cmp_eq_u64_e64 s[0:1], v[1:2], v[18:19]
	v_lshrrev_b64 v[1:2], v28, v[10:11]
	v_add_u32_e32 v2, 0xffffff88, v27
	v_cndmask_b32_e32 v2, v2, v26, vcc
	v_lshrrev_b32_e32 v10, 23, v1
	v_add3_u32 v19, v2, v28, v10
	v_and_b32_e32 v10, 0x100000, v1
	v_cmp_eq_u64_e32 vcc, 0, v[10:11]
	v_add_u32_e32 v27, -1, v19
	s_and_b64 vcc, vcc, s[0:1]
	v_subbrev_co_u32_e32 v2, vcc, 0, v1, vcc
	v_and_b32_e32 v2, 0xfffff, v2
	v_add_u32_e32 v10, v2, v1
	v_cmp_ne_u32_e32 vcc, 0, v27
                                        ; implicit-def: $vgpr1_vgpr2
                                        ; implicit-def: $vgpr18
	s_and_saveexec_b64 s[0:1], vcc
	s_xor_b64 s[0:1], exec, s[0:1]
; %bb.55:                               ;   in Loop: Header=BB8_15 Depth=1
	v_and_b32_e32 v28, 0x1000000, v10
	v_mov_b32_e32 v29, v11
	v_bfe_u32 v1, v10, 24, 1
	v_cmp_eq_u64_e32 vcc, 0, v[28:29]
	v_lshrrev_b64 v[1:2], v1, v[10:11]
	v_cndmask_b32_e32 v18, v19, v27, vcc
; %bb.56:                               ;   in Loop: Header=BB8_15 Depth=1
	s_andn2_saveexec_b64 s[0:1], s[0:1]
; %bb.57:                               ;   in Loop: Header=BB8_15 Depth=1
	v_mov_b32_e32 v1, v10
	v_bfe_u32 v18, v10, 23, 1
	v_mov_b32_e32 v2, v11
; %bb.58:                               ;   in Loop: Header=BB8_15 Depth=1
	s_or_b64 exec, exec, s[0:1]
	v_lshrrev_b64 v[1:2], 20, v[1:2]
	v_cmp_gt_i32_e32 vcc, 16, v18
	v_cndmask_b32_e32 v2, 0, v2, vcc
	v_cndmask_b32_e32 v1, 7, v1, vcc
	v_cmp_ne_u64_e32 vcc, 0, v[1:2]
	v_cmp_ne_u32_e64 s[0:1], 0, v18
	s_or_b64 s[0:1], s[0:1], vcc
                                        ; implicit-def: $vgpr2
	s_and_saveexec_b64 s[22:23], s[0:1]
	s_xor_b64 s[0:1], exec, s[22:23]
; %bb.59:                               ;   in Loop: Header=BB8_15 Depth=1
	v_min_i32_e32 v2, 15, v18
	v_lshl_or_b32 v2, v2, 3, v6
	v_and_or_b32 v2, v1, 7, v2
                                        ; implicit-def: $vgpr6
; %bb.60:                               ;   in Loop: Header=BB8_15 Depth=1
	s_andn2_saveexec_b64 s[0:1], s[0:1]
; %bb.61:                               ;   in Loop: Header=BB8_15 Depth=1
	v_mov_b32_e32 v2, v6
; %bb.62:                               ;   in Loop: Header=BB8_15 Depth=1
	s_or_b64 exec, exec, s[0:1]
.LBB8_63:                               ;   in Loop: Header=BB8_15 Depth=1
	s_or_b64 exec, exec, s[16:17]
                                        ; implicit-def: $vgpr6
.LBB8_64:                               ;   in Loop: Header=BB8_15 Depth=1
	s_andn2_saveexec_b64 s[0:1], s[10:11]
; %bb.65:                               ;   in Loop: Header=BB8_15 Depth=1
	v_or_b32_e32 v2, 0x7e, v6
; %bb.66:                               ;   in Loop: Header=BB8_15 Depth=1
	s_or_b64 exec, exec, s[0:1]
                                        ; implicit-def: $vgpr1
.LBB8_67:                               ;   in Loop: Header=BB8_15 Depth=1
	s_andn2_saveexec_b64 s[0:1], s[8:9]
; %bb.68:                               ;   in Loop: Header=BB8_15 Depth=1
	v_or_b32_sdwa v2, v1, s21 dst_sel:DWORD dst_unused:UNUSED_PAD src0_sel:BYTE_3 src1_sel:DWORD
; %bb.69:                               ;   in Loop: Header=BB8_15 Depth=1
	s_or_b64 exec, exec, s[0:1]
	v_cvt_f32_f16_sdwa v1, v5 dst_sel:DWORD dst_unused:UNUSED_PAD src0_sel:WORD_1
	global_store_byte v[16:17], v2, off offset:2
                                        ; implicit-def: $vgpr2
	v_mul_f32_e32 v1, v25, v1
	v_min_f32_e32 v1, 0x43e00000, v1
	v_max_f32_e32 v1, 0xc3e00000, v1
	v_and_b32_e32 v10, 0x7f800000, v1
	v_cmp_ne_u64_e32 vcc, s[4:5], v[10:11]
	s_and_saveexec_b64 s[0:1], vcc
	s_xor_b64 s[8:9], exec, s[0:1]
	s_cbranch_execz .LBB8_85
; %bb.70:                               ;   in Loop: Header=BB8_15 Depth=1
	v_and_b32_e32 v10, 0x7fffffff, v1
	v_cmp_gt_u64_e32 vcc, s[6:7], v[10:11]
	v_and_b32_sdwa v5, v1, s13 dst_sel:DWORD dst_unused:UNUSED_PAD src0_sel:BYTE_3 src1_sel:DWORD
                                        ; implicit-def: $vgpr2
	s_and_saveexec_b64 s[0:1], vcc
	s_xor_b64 s[10:11], exec, s[0:1]
	s_cbranch_execz .LBB8_82
; %bb.71:                               ;   in Loop: Header=BB8_15 Depth=1
	v_cmp_ne_u32_e32 vcc, 0, v1
	v_mov_b32_e32 v2, 0
	s_and_saveexec_b64 s[16:17], vcc
	s_cbranch_execz .LBB8_81
; %bb.72:                               ;   in Loop: Header=BB8_15 Depth=1
	v_bfe_u32 v27, v1, 23, 8
	v_and_b32_e32 v6, 0x7fffff, v1
	v_sub_u32_e64 v1, s20, v27 clamp
	v_cmp_eq_u32_e32 vcc, 0, v27
	v_cndmask_b32_e32 v28, v1, v23, vcc
	v_or_b32_e32 v10, 0x800000, v6
	v_add_u32_e32 v1, 20, v28
	v_lshlrev_b64 v[1:2], v1, -1
	v_cndmask_b32_e32 v10, v10, v6, vcc
	v_add_u32_e32 v6, 19, v28
	v_lshlrev_b64 v[18:19], v6, 1
	v_bfi_b32 v2, v2, 0, 0
	v_bfi_b32 v1, v1, 0, v10
	v_cmp_eq_u64_e64 s[0:1], v[1:2], v[18:19]
	v_lshrrev_b64 v[1:2], v28, v[10:11]
	v_add_u32_e32 v2, 0xffffff88, v27
	v_and_b32_e32 v10, 0x100000, v1
	v_cndmask_b32_e32 v2, v2, v26, vcc
	v_cmp_eq_u64_e32 vcc, 0, v[10:11]
	v_lshrrev_b32_e32 v6, 23, v1
	s_and_b64 vcc, vcc, s[0:1]
	v_add3_u32 v18, v2, v28, v6
	v_subbrev_co_u32_e32 v2, vcc, 0, v1, vcc
	v_add_u32_e32 v19, -1, v18
	v_and_b32_e32 v2, 0xfffff, v2
	v_add_u32_e32 v10, v2, v1
	v_cmp_ne_u32_e32 vcc, 0, v19
                                        ; implicit-def: $vgpr1_vgpr2
                                        ; implicit-def: $vgpr6
	s_and_saveexec_b64 s[0:1], vcc
	s_xor_b64 s[0:1], exec, s[0:1]
; %bb.73:                               ;   in Loop: Header=BB8_15 Depth=1
	v_and_b32_e32 v27, 0x1000000, v10
	v_mov_b32_e32 v28, v11
	v_bfe_u32 v1, v10, 24, 1
	v_cmp_eq_u64_e32 vcc, 0, v[27:28]
	v_lshrrev_b64 v[1:2], v1, v[10:11]
	v_cndmask_b32_e32 v6, v18, v19, vcc
; %bb.74:                               ;   in Loop: Header=BB8_15 Depth=1
	s_andn2_saveexec_b64 s[0:1], s[0:1]
; %bb.75:                               ;   in Loop: Header=BB8_15 Depth=1
	v_mov_b32_e32 v1, v10
	v_bfe_u32 v6, v10, 23, 1
	v_mov_b32_e32 v2, v11
; %bb.76:                               ;   in Loop: Header=BB8_15 Depth=1
	s_or_b64 exec, exec, s[0:1]
	v_lshrrev_b64 v[1:2], 20, v[1:2]
	v_cmp_gt_i32_e32 vcc, 16, v6
	v_cndmask_b32_e32 v2, 0, v2, vcc
	v_cndmask_b32_e32 v1, 7, v1, vcc
	v_cmp_ne_u64_e32 vcc, 0, v[1:2]
	v_cmp_ne_u32_e64 s[0:1], 0, v6
	s_or_b64 s[0:1], s[0:1], vcc
                                        ; implicit-def: $vgpr2
	s_and_saveexec_b64 s[22:23], s[0:1]
	s_xor_b64 s[0:1], exec, s[22:23]
; %bb.77:                               ;   in Loop: Header=BB8_15 Depth=1
	v_min_i32_e32 v2, 15, v6
	v_lshl_or_b32 v2, v2, 3, v5
	v_and_or_b32 v2, v1, 7, v2
                                        ; implicit-def: $vgpr5
; %bb.78:                               ;   in Loop: Header=BB8_15 Depth=1
	s_andn2_saveexec_b64 s[0:1], s[0:1]
; %bb.79:                               ;   in Loop: Header=BB8_15 Depth=1
	v_mov_b32_e32 v2, v5
; %bb.80:                               ;   in Loop: Header=BB8_15 Depth=1
	s_or_b64 exec, exec, s[0:1]
.LBB8_81:                               ;   in Loop: Header=BB8_15 Depth=1
	s_or_b64 exec, exec, s[16:17]
                                        ; implicit-def: $vgpr5
.LBB8_82:                               ;   in Loop: Header=BB8_15 Depth=1
	s_andn2_saveexec_b64 s[0:1], s[10:11]
; %bb.83:                               ;   in Loop: Header=BB8_15 Depth=1
	v_or_b32_e32 v2, 0x7e, v5
; %bb.84:                               ;   in Loop: Header=BB8_15 Depth=1
	s_or_b64 exec, exec, s[0:1]
                                        ; implicit-def: $vgpr1
.LBB8_85:                               ;   in Loop: Header=BB8_15 Depth=1
	s_andn2_saveexec_b64 s[0:1], s[8:9]
; %bb.86:                               ;   in Loop: Header=BB8_15 Depth=1
	v_or_b32_sdwa v2, v1, s21 dst_sel:DWORD dst_unused:UNUSED_PAD src0_sel:BYTE_3 src1_sel:DWORD
; %bb.87:                               ;   in Loop: Header=BB8_15 Depth=1
	s_or_b64 exec, exec, s[0:1]
	v_fma_mixlo_f16 v1, v24, v3, 0 op_sel_hi:[0,1,0]
	v_fma_mixhi_f16 v1, v24, v3, 0 op_sel:[0,1,0] op_sel_hi:[0,1,0]
	v_pk_mul_f16 v3, v1, v7
	v_cvt_f32_f16_e32 v1, v3
	global_store_byte v[16:17], v2, off offset:3
                                        ; implicit-def: $vgpr2
	v_mul_f32_e32 v1, v25, v1
	v_min_f32_e32 v1, 0x43e00000, v1
	v_max_f32_e32 v1, 0xc3e00000, v1
	v_and_b32_e32 v10, 0x7f800000, v1
	v_cmp_ne_u64_e32 vcc, s[4:5], v[10:11]
	s_and_saveexec_b64 s[0:1], vcc
	s_xor_b64 s[8:9], exec, s[0:1]
	s_cbranch_execz .LBB8_103
; %bb.88:                               ;   in Loop: Header=BB8_15 Depth=1
	v_and_b32_e32 v10, 0x7fffffff, v1
	v_cmp_gt_u64_e32 vcc, s[6:7], v[10:11]
	v_and_b32_sdwa v5, v1, s13 dst_sel:DWORD dst_unused:UNUSED_PAD src0_sel:BYTE_3 src1_sel:DWORD
                                        ; implicit-def: $vgpr2
	s_and_saveexec_b64 s[0:1], vcc
	s_xor_b64 s[10:11], exec, s[0:1]
	s_cbranch_execz .LBB8_100
; %bb.89:                               ;   in Loop: Header=BB8_15 Depth=1
	v_cmp_ne_u32_e32 vcc, 0, v1
	v_mov_b32_e32 v2, 0
	s_and_saveexec_b64 s[16:17], vcc
	s_cbranch_execz .LBB8_99
; %bb.90:                               ;   in Loop: Header=BB8_15 Depth=1
	v_bfe_u32 v18, v1, 23, 8
	v_and_b32_e32 v6, 0x7fffff, v1
	v_sub_u32_e64 v1, s20, v18 clamp
	v_cmp_eq_u32_e32 vcc, 0, v18
	v_cndmask_b32_e32 v19, v1, v23, vcc
	v_or_b32_e32 v7, 0x800000, v6
	v_add_u32_e32 v1, 20, v19
	v_lshlrev_b64 v[1:2], v1, -1
	v_cndmask_b32_e32 v10, v7, v6, vcc
	v_add_u32_e32 v6, 19, v19
	v_lshlrev_b64 v[6:7], v6, 1
	v_bfi_b32 v2, v2, 0, 0
	v_bfi_b32 v1, v1, 0, v10
	v_cmp_eq_u64_e64 s[0:1], v[1:2], v[6:7]
	v_lshrrev_b64 v[1:2], v19, v[10:11]
	v_add_u32_e32 v2, 0xffffff88, v18
	v_and_b32_e32 v10, 0x100000, v1
	v_cndmask_b32_e32 v2, v2, v26, vcc
	v_cmp_eq_u64_e32 vcc, 0, v[10:11]
	v_lshrrev_b32_e32 v6, 23, v1
	s_and_b64 vcc, vcc, s[0:1]
	v_add3_u32 v7, v2, v19, v6
	v_subbrev_co_u32_e32 v2, vcc, 0, v1, vcc
	v_add_u32_e32 v18, -1, v7
	v_and_b32_e32 v2, 0xfffff, v2
	v_add_u32_e32 v10, v2, v1
	v_cmp_ne_u32_e32 vcc, 0, v18
                                        ; implicit-def: $vgpr1_vgpr2
                                        ; implicit-def: $vgpr6
	s_and_saveexec_b64 s[0:1], vcc
	s_xor_b64 s[0:1], exec, s[0:1]
; %bb.91:                               ;   in Loop: Header=BB8_15 Depth=1
	v_and_b32_e32 v27, 0x1000000, v10
	v_mov_b32_e32 v28, v11
	v_bfe_u32 v1, v10, 24, 1
	v_cmp_eq_u64_e32 vcc, 0, v[27:28]
	v_lshrrev_b64 v[1:2], v1, v[10:11]
	v_cndmask_b32_e32 v6, v7, v18, vcc
; %bb.92:                               ;   in Loop: Header=BB8_15 Depth=1
	s_andn2_saveexec_b64 s[0:1], s[0:1]
; %bb.93:                               ;   in Loop: Header=BB8_15 Depth=1
	v_mov_b32_e32 v1, v10
	v_bfe_u32 v6, v10, 23, 1
	v_mov_b32_e32 v2, v11
; %bb.94:                               ;   in Loop: Header=BB8_15 Depth=1
	s_or_b64 exec, exec, s[0:1]
	v_lshrrev_b64 v[1:2], 20, v[1:2]
	v_cmp_gt_i32_e32 vcc, 16, v6
	v_cndmask_b32_e32 v2, 0, v2, vcc
	v_cndmask_b32_e32 v1, 7, v1, vcc
	v_cmp_ne_u64_e32 vcc, 0, v[1:2]
	v_cmp_ne_u32_e64 s[0:1], 0, v6
	s_or_b64 s[0:1], s[0:1], vcc
                                        ; implicit-def: $vgpr2
	s_and_saveexec_b64 s[22:23], s[0:1]
	s_xor_b64 s[0:1], exec, s[22:23]
; %bb.95:                               ;   in Loop: Header=BB8_15 Depth=1
	v_min_i32_e32 v2, 15, v6
	v_lshl_or_b32 v2, v2, 3, v5
	v_and_or_b32 v2, v1, 7, v2
                                        ; implicit-def: $vgpr5
; %bb.96:                               ;   in Loop: Header=BB8_15 Depth=1
	s_andn2_saveexec_b64 s[0:1], s[0:1]
; %bb.97:                               ;   in Loop: Header=BB8_15 Depth=1
	v_mov_b32_e32 v2, v5
; %bb.98:                               ;   in Loop: Header=BB8_15 Depth=1
	s_or_b64 exec, exec, s[0:1]
.LBB8_99:                               ;   in Loop: Header=BB8_15 Depth=1
	s_or_b64 exec, exec, s[16:17]
                                        ; implicit-def: $vgpr5
.LBB8_100:                              ;   in Loop: Header=BB8_15 Depth=1
	s_andn2_saveexec_b64 s[0:1], s[10:11]
; %bb.101:                              ;   in Loop: Header=BB8_15 Depth=1
	v_or_b32_e32 v2, 0x7e, v5
; %bb.102:                              ;   in Loop: Header=BB8_15 Depth=1
	s_or_b64 exec, exec, s[0:1]
                                        ; implicit-def: $vgpr1
.LBB8_103:                              ;   in Loop: Header=BB8_15 Depth=1
	s_andn2_saveexec_b64 s[0:1], s[8:9]
; %bb.104:                              ;   in Loop: Header=BB8_15 Depth=1
	v_or_b32_sdwa v2, v1, s21 dst_sel:DWORD dst_unused:UNUSED_PAD src0_sel:BYTE_3 src1_sel:DWORD
; %bb.105:                              ;   in Loop: Header=BB8_15 Depth=1
	s_or_b64 exec, exec, s[0:1]
	v_cvt_f32_f16_sdwa v1, v3 dst_sel:DWORD dst_unused:UNUSED_PAD src0_sel:WORD_1
	global_store_byte v[16:17], v2, off offset:4
                                        ; implicit-def: $vgpr2
	v_mul_f32_e32 v1, v25, v1
	v_min_f32_e32 v1, 0x43e00000, v1
	v_max_f32_e32 v1, 0xc3e00000, v1
	v_and_b32_e32 v10, 0x7f800000, v1
	v_cmp_ne_u64_e32 vcc, s[4:5], v[10:11]
	s_and_saveexec_b64 s[0:1], vcc
	s_xor_b64 s[8:9], exec, s[0:1]
	s_cbranch_execz .LBB8_121
; %bb.106:                              ;   in Loop: Header=BB8_15 Depth=1
	v_and_b32_e32 v10, 0x7fffffff, v1
	v_cmp_gt_u64_e32 vcc, s[6:7], v[10:11]
	v_and_b32_sdwa v3, v1, s13 dst_sel:DWORD dst_unused:UNUSED_PAD src0_sel:BYTE_3 src1_sel:DWORD
                                        ; implicit-def: $vgpr2
	s_and_saveexec_b64 s[0:1], vcc
	s_xor_b64 s[10:11], exec, s[0:1]
	s_cbranch_execz .LBB8_118
; %bb.107:                              ;   in Loop: Header=BB8_15 Depth=1
	v_cmp_ne_u32_e32 vcc, 0, v1
	v_mov_b32_e32 v2, 0
	s_and_saveexec_b64 s[16:17], vcc
	s_cbranch_execz .LBB8_117
; %bb.108:                              ;   in Loop: Header=BB8_15 Depth=1
	v_bfe_u32 v7, v1, 23, 8
	v_and_b32_e32 v5, 0x7fffff, v1
	v_sub_u32_e64 v1, s20, v7 clamp
	v_cmp_eq_u32_e32 vcc, 0, v7
	v_cndmask_b32_e32 v18, v1, v23, vcc
	v_or_b32_e32 v6, 0x800000, v5
	v_add_u32_e32 v1, 20, v18
	v_lshlrev_b64 v[1:2], v1, -1
	v_cndmask_b32_e32 v10, v6, v5, vcc
	v_add_u32_e32 v5, 19, v18
	v_lshlrev_b64 v[5:6], v5, 1
	v_bfi_b32 v2, v2, 0, 0
	v_bfi_b32 v1, v1, 0, v10
	v_cmp_eq_u64_e64 s[0:1], v[1:2], v[5:6]
	v_lshrrev_b64 v[1:2], v18, v[10:11]
	v_add_u32_e32 v2, 0xffffff88, v7
	v_and_b32_e32 v10, 0x100000, v1
	v_cndmask_b32_e32 v2, v2, v26, vcc
	v_cmp_eq_u64_e32 vcc, 0, v[10:11]
	v_lshrrev_b32_e32 v5, 23, v1
	s_and_b64 vcc, vcc, s[0:1]
	v_add3_u32 v6, v2, v18, v5
	v_subbrev_co_u32_e32 v2, vcc, 0, v1, vcc
	v_add_u32_e32 v7, -1, v6
	v_and_b32_e32 v2, 0xfffff, v2
	v_add_u32_e32 v10, v2, v1
	v_cmp_ne_u32_e32 vcc, 0, v7
                                        ; implicit-def: $vgpr1_vgpr2
                                        ; implicit-def: $vgpr5
	s_and_saveexec_b64 s[0:1], vcc
	s_xor_b64 s[0:1], exec, s[0:1]
; %bb.109:                              ;   in Loop: Header=BB8_15 Depth=1
	v_and_b32_e32 v18, 0x1000000, v10
	v_mov_b32_e32 v19, v11
	v_bfe_u32 v1, v10, 24, 1
	v_cmp_eq_u64_e32 vcc, 0, v[18:19]
	v_lshrrev_b64 v[1:2], v1, v[10:11]
	v_cndmask_b32_e32 v5, v6, v7, vcc
; %bb.110:                              ;   in Loop: Header=BB8_15 Depth=1
	s_andn2_saveexec_b64 s[0:1], s[0:1]
; %bb.111:                              ;   in Loop: Header=BB8_15 Depth=1
	v_mov_b32_e32 v1, v10
	v_bfe_u32 v5, v10, 23, 1
	v_mov_b32_e32 v2, v11
; %bb.112:                              ;   in Loop: Header=BB8_15 Depth=1
	s_or_b64 exec, exec, s[0:1]
	v_lshrrev_b64 v[1:2], 20, v[1:2]
	v_cmp_gt_i32_e32 vcc, 16, v5
	v_cndmask_b32_e32 v2, 0, v2, vcc
	v_cndmask_b32_e32 v1, 7, v1, vcc
	v_cmp_ne_u64_e32 vcc, 0, v[1:2]
	v_cmp_ne_u32_e64 s[0:1], 0, v5
	s_or_b64 s[0:1], s[0:1], vcc
                                        ; implicit-def: $vgpr2
	s_and_saveexec_b64 s[22:23], s[0:1]
	s_xor_b64 s[0:1], exec, s[22:23]
; %bb.113:                              ;   in Loop: Header=BB8_15 Depth=1
	v_min_i32_e32 v2, 15, v5
	v_lshl_or_b32 v2, v2, 3, v3
	v_and_or_b32 v2, v1, 7, v2
                                        ; implicit-def: $vgpr3
; %bb.114:                              ;   in Loop: Header=BB8_15 Depth=1
	s_andn2_saveexec_b64 s[0:1], s[0:1]
; %bb.115:                              ;   in Loop: Header=BB8_15 Depth=1
	v_mov_b32_e32 v2, v3
; %bb.116:                              ;   in Loop: Header=BB8_15 Depth=1
	s_or_b64 exec, exec, s[0:1]
.LBB8_117:                              ;   in Loop: Header=BB8_15 Depth=1
	s_or_b64 exec, exec, s[16:17]
                                        ; implicit-def: $vgpr3
.LBB8_118:                              ;   in Loop: Header=BB8_15 Depth=1
	s_andn2_saveexec_b64 s[0:1], s[10:11]
; %bb.119:                              ;   in Loop: Header=BB8_15 Depth=1
	v_or_b32_e32 v2, 0x7e, v3
; %bb.120:                              ;   in Loop: Header=BB8_15 Depth=1
	s_or_b64 exec, exec, s[0:1]
                                        ; implicit-def: $vgpr1
.LBB8_121:                              ;   in Loop: Header=BB8_15 Depth=1
	s_andn2_saveexec_b64 s[0:1], s[8:9]
; %bb.122:                              ;   in Loop: Header=BB8_15 Depth=1
	v_or_b32_sdwa v2, v1, s21 dst_sel:DWORD dst_unused:UNUSED_PAD src0_sel:BYTE_3 src1_sel:DWORD
; %bb.123:                              ;   in Loop: Header=BB8_15 Depth=1
	s_or_b64 exec, exec, s[0:1]
	v_fma_mixlo_f16 v1, v24, v4, 0 op_sel_hi:[0,1,0]
	v_fma_mixhi_f16 v1, v24, v4, 0 op_sel:[0,1,0] op_sel_hi:[0,1,0]
	v_pk_mul_f16 v3, v1, v8
	v_cvt_f32_f16_e32 v1, v3
	global_store_byte v[16:17], v2, off offset:5
                                        ; implicit-def: $vgpr2
	v_mul_f32_e32 v1, v25, v1
	v_min_f32_e32 v1, 0x43e00000, v1
	v_max_f32_e32 v1, 0xc3e00000, v1
	v_and_b32_e32 v10, 0x7f800000, v1
	v_cmp_ne_u64_e32 vcc, s[4:5], v[10:11]
	s_and_saveexec_b64 s[0:1], vcc
	s_xor_b64 s[8:9], exec, s[0:1]
	s_cbranch_execz .LBB8_139
; %bb.124:                              ;   in Loop: Header=BB8_15 Depth=1
	v_and_b32_e32 v10, 0x7fffffff, v1
	v_cmp_gt_u64_e32 vcc, s[6:7], v[10:11]
	v_and_b32_sdwa v4, v1, s13 dst_sel:DWORD dst_unused:UNUSED_PAD src0_sel:BYTE_3 src1_sel:DWORD
                                        ; implicit-def: $vgpr2
	s_and_saveexec_b64 s[0:1], vcc
	s_xor_b64 s[10:11], exec, s[0:1]
	s_cbranch_execz .LBB8_136
; %bb.125:                              ;   in Loop: Header=BB8_15 Depth=1
	v_cmp_ne_u32_e32 vcc, 0, v1
	v_mov_b32_e32 v2, 0
	s_and_saveexec_b64 s[16:17], vcc
	s_cbranch_execz .LBB8_135
; %bb.126:                              ;   in Loop: Header=BB8_15 Depth=1
	v_bfe_u32 v7, v1, 23, 8
	v_and_b32_e32 v5, 0x7fffff, v1
	v_sub_u32_e64 v1, s20, v7 clamp
	v_cmp_eq_u32_e32 vcc, 0, v7
	v_cndmask_b32_e32 v8, v1, v23, vcc
	v_or_b32_e32 v6, 0x800000, v5
	v_add_u32_e32 v1, 20, v8
	v_lshlrev_b64 v[1:2], v1, -1
	v_cndmask_b32_e32 v10, v6, v5, vcc
	v_add_u32_e32 v5, 19, v8
	v_lshlrev_b64 v[5:6], v5, 1
	v_bfi_b32 v2, v2, 0, 0
	v_bfi_b32 v1, v1, 0, v10
	v_cmp_eq_u64_e64 s[0:1], v[1:2], v[5:6]
	v_lshrrev_b64 v[1:2], v8, v[10:11]
	v_add_u32_e32 v2, 0xffffff88, v7
	v_and_b32_e32 v10, 0x100000, v1
	v_cndmask_b32_e32 v2, v2, v26, vcc
	v_cmp_eq_u64_e32 vcc, 0, v[10:11]
	v_lshrrev_b32_e32 v5, 23, v1
	s_and_b64 vcc, vcc, s[0:1]
	v_add3_u32 v6, v2, v8, v5
	v_subbrev_co_u32_e32 v2, vcc, 0, v1, vcc
	v_add_u32_e32 v7, -1, v6
	v_and_b32_e32 v2, 0xfffff, v2
	v_add_u32_e32 v10, v2, v1
	v_cmp_ne_u32_e32 vcc, 0, v7
                                        ; implicit-def: $vgpr1_vgpr2
                                        ; implicit-def: $vgpr5
	s_and_saveexec_b64 s[0:1], vcc
	s_xor_b64 s[0:1], exec, s[0:1]
; %bb.127:                              ;   in Loop: Header=BB8_15 Depth=1
	v_and_b32_e32 v18, 0x1000000, v10
	v_mov_b32_e32 v19, v11
	v_bfe_u32 v1, v10, 24, 1
	v_cmp_eq_u64_e32 vcc, 0, v[18:19]
	v_lshrrev_b64 v[1:2], v1, v[10:11]
	v_cndmask_b32_e32 v5, v6, v7, vcc
; %bb.128:                              ;   in Loop: Header=BB8_15 Depth=1
	s_andn2_saveexec_b64 s[0:1], s[0:1]
; %bb.129:                              ;   in Loop: Header=BB8_15 Depth=1
	v_mov_b32_e32 v1, v10
	v_bfe_u32 v5, v10, 23, 1
	v_mov_b32_e32 v2, v11
; %bb.130:                              ;   in Loop: Header=BB8_15 Depth=1
	s_or_b64 exec, exec, s[0:1]
	v_lshrrev_b64 v[1:2], 20, v[1:2]
	v_cmp_gt_i32_e32 vcc, 16, v5
	v_cndmask_b32_e32 v2, 0, v2, vcc
	v_cndmask_b32_e32 v1, 7, v1, vcc
	v_cmp_ne_u64_e32 vcc, 0, v[1:2]
	v_cmp_ne_u32_e64 s[0:1], 0, v5
	s_or_b64 s[0:1], s[0:1], vcc
                                        ; implicit-def: $vgpr2
	s_and_saveexec_b64 s[22:23], s[0:1]
	s_xor_b64 s[0:1], exec, s[22:23]
; %bb.131:                              ;   in Loop: Header=BB8_15 Depth=1
	v_min_i32_e32 v2, 15, v5
	v_lshl_or_b32 v2, v2, 3, v4
	v_and_or_b32 v2, v1, 7, v2
                                        ; implicit-def: $vgpr4
; %bb.132:                              ;   in Loop: Header=BB8_15 Depth=1
	s_andn2_saveexec_b64 s[0:1], s[0:1]
; %bb.133:                              ;   in Loop: Header=BB8_15 Depth=1
	v_mov_b32_e32 v2, v4
; %bb.134:                              ;   in Loop: Header=BB8_15 Depth=1
	s_or_b64 exec, exec, s[0:1]
.LBB8_135:                              ;   in Loop: Header=BB8_15 Depth=1
	s_or_b64 exec, exec, s[16:17]
                                        ; implicit-def: $vgpr4
.LBB8_136:                              ;   in Loop: Header=BB8_15 Depth=1
	s_andn2_saveexec_b64 s[0:1], s[10:11]
; %bb.137:                              ;   in Loop: Header=BB8_15 Depth=1
	v_or_b32_e32 v2, 0x7e, v4
; %bb.138:                              ;   in Loop: Header=BB8_15 Depth=1
	s_or_b64 exec, exec, s[0:1]
                                        ; implicit-def: $vgpr1
.LBB8_139:                              ;   in Loop: Header=BB8_15 Depth=1
	s_andn2_saveexec_b64 s[0:1], s[8:9]
; %bb.140:                              ;   in Loop: Header=BB8_15 Depth=1
	v_or_b32_sdwa v2, v1, s21 dst_sel:DWORD dst_unused:UNUSED_PAD src0_sel:BYTE_3 src1_sel:DWORD
; %bb.141:                              ;   in Loop: Header=BB8_15 Depth=1
	s_or_b64 exec, exec, s[0:1]
	v_cvt_f32_f16_sdwa v1, v3 dst_sel:DWORD dst_unused:UNUSED_PAD src0_sel:WORD_1
	global_store_byte v[16:17], v2, off offset:6
                                        ; implicit-def: $vgpr2
	v_mul_f32_e32 v1, v25, v1
	v_min_f32_e32 v1, 0x43e00000, v1
	v_max_f32_e32 v1, 0xc3e00000, v1
	v_and_b32_e32 v10, 0x7f800000, v1
	v_cmp_ne_u64_e32 vcc, s[4:5], v[10:11]
	s_and_saveexec_b64 s[0:1], vcc
	s_xor_b64 s[8:9], exec, s[0:1]
	s_cbranch_execz .LBB8_157
; %bb.142:                              ;   in Loop: Header=BB8_15 Depth=1
	v_and_b32_e32 v10, 0x7fffffff, v1
	v_cmp_gt_u64_e32 vcc, s[6:7], v[10:11]
	v_and_b32_sdwa v3, v1, s13 dst_sel:DWORD dst_unused:UNUSED_PAD src0_sel:BYTE_3 src1_sel:DWORD
                                        ; implicit-def: $vgpr2
	s_and_saveexec_b64 s[0:1], vcc
	s_xor_b64 s[10:11], exec, s[0:1]
	s_cbranch_execz .LBB8_154
; %bb.143:                              ;   in Loop: Header=BB8_15 Depth=1
	v_cmp_ne_u32_e32 vcc, 0, v1
	v_mov_b32_e32 v2, 0
	s_and_saveexec_b64 s[16:17], vcc
	s_cbranch_execz .LBB8_153
; %bb.144:                              ;   in Loop: Header=BB8_15 Depth=1
	v_bfe_u32 v6, v1, 23, 8
	v_and_b32_e32 v4, 0x7fffff, v1
	v_sub_u32_e64 v1, s20, v6 clamp
	v_cmp_eq_u32_e32 vcc, 0, v6
	v_cndmask_b32_e32 v7, v1, v23, vcc
	v_or_b32_e32 v5, 0x800000, v4
	v_add_u32_e32 v1, 20, v7
	v_lshlrev_b64 v[1:2], v1, -1
	v_cndmask_b32_e32 v10, v5, v4, vcc
	v_add_u32_e32 v4, 19, v7
	v_lshlrev_b64 v[4:5], v4, 1
	v_bfi_b32 v2, v2, 0, 0
	v_bfi_b32 v1, v1, 0, v10
	v_cmp_eq_u64_e64 s[0:1], v[1:2], v[4:5]
	v_lshrrev_b64 v[1:2], v7, v[10:11]
	v_add_u32_e32 v2, 0xffffff88, v6
	v_and_b32_e32 v10, 0x100000, v1
	v_cndmask_b32_e32 v2, v2, v26, vcc
	v_cmp_eq_u64_e32 vcc, 0, v[10:11]
	v_lshrrev_b32_e32 v4, 23, v1
	s_and_b64 vcc, vcc, s[0:1]
	v_add3_u32 v5, v2, v7, v4
	v_subbrev_co_u32_e32 v2, vcc, 0, v1, vcc
	v_add_u32_e32 v6, -1, v5
	v_and_b32_e32 v2, 0xfffff, v2
	v_add_u32_e32 v10, v2, v1
	v_cmp_ne_u32_e32 vcc, 0, v6
                                        ; implicit-def: $vgpr1_vgpr2
                                        ; implicit-def: $vgpr4
	s_and_saveexec_b64 s[0:1], vcc
	s_xor_b64 s[0:1], exec, s[0:1]
; %bb.145:                              ;   in Loop: Header=BB8_15 Depth=1
	v_and_b32_e32 v7, 0x1000000, v10
	v_mov_b32_e32 v8, v11
	v_bfe_u32 v1, v10, 24, 1
	v_cmp_eq_u64_e32 vcc, 0, v[7:8]
	v_lshrrev_b64 v[1:2], v1, v[10:11]
	v_cndmask_b32_e32 v4, v5, v6, vcc
; %bb.146:                              ;   in Loop: Header=BB8_15 Depth=1
	s_andn2_saveexec_b64 s[0:1], s[0:1]
; %bb.147:                              ;   in Loop: Header=BB8_15 Depth=1
	v_mov_b32_e32 v1, v10
	v_bfe_u32 v4, v10, 23, 1
	v_mov_b32_e32 v2, v11
; %bb.148:                              ;   in Loop: Header=BB8_15 Depth=1
	s_or_b64 exec, exec, s[0:1]
	v_lshrrev_b64 v[1:2], 20, v[1:2]
	v_cmp_gt_i32_e32 vcc, 16, v4
	v_cndmask_b32_e32 v2, 0, v2, vcc
	v_cndmask_b32_e32 v1, 7, v1, vcc
	v_cmp_ne_u64_e32 vcc, 0, v[1:2]
	v_cmp_ne_u32_e64 s[0:1], 0, v4
	s_or_b64 s[0:1], s[0:1], vcc
                                        ; implicit-def: $vgpr2
	s_and_saveexec_b64 s[22:23], s[0:1]
	s_xor_b64 s[0:1], exec, s[22:23]
; %bb.149:                              ;   in Loop: Header=BB8_15 Depth=1
	v_min_i32_e32 v2, 15, v4
	v_lshl_or_b32 v2, v2, 3, v3
	v_and_or_b32 v2, v1, 7, v2
                                        ; implicit-def: $vgpr3
; %bb.150:                              ;   in Loop: Header=BB8_15 Depth=1
	s_andn2_saveexec_b64 s[0:1], s[0:1]
; %bb.151:                              ;   in Loop: Header=BB8_15 Depth=1
	v_mov_b32_e32 v2, v3
; %bb.152:                              ;   in Loop: Header=BB8_15 Depth=1
	s_or_b64 exec, exec, s[0:1]
.LBB8_153:                              ;   in Loop: Header=BB8_15 Depth=1
	s_or_b64 exec, exec, s[16:17]
                                        ; implicit-def: $vgpr3
.LBB8_154:                              ;   in Loop: Header=BB8_15 Depth=1
	s_andn2_saveexec_b64 s[0:1], s[10:11]
; %bb.155:                              ;   in Loop: Header=BB8_15 Depth=1
	v_or_b32_e32 v2, 0x7e, v3
; %bb.156:                              ;   in Loop: Header=BB8_15 Depth=1
	s_or_b64 exec, exec, s[0:1]
                                        ; implicit-def: $vgpr1
.LBB8_157:                              ;   in Loop: Header=BB8_15 Depth=1
	s_andn2_saveexec_b64 s[0:1], s[8:9]
	s_cbranch_execz .LBB8_14
; %bb.158:                              ;   in Loop: Header=BB8_15 Depth=1
	v_or_b32_sdwa v2, v1, s21 dst_sel:DWORD dst_unused:UNUSED_PAD src0_sel:BYTE_3 src1_sel:DWORD
	s_branch .LBB8_14
.LBB8_159:
	s_endpgm
	.section	.rodata,"a",@progbits
	.p2align	6, 0x0
	.amdhsa_kernel _ZN4vllm42fused_add_rms_norm_static_fp8_quant_kernelIN3c104HalfELi8ENS1_13Float8_e4m3fnEEENSt9enable_ifIXaagtT0_Li0Esr12_typeConvertIT_EE6existsEvE4typeEPT1_PS5_iSA_PKS5_PKffii
		.amdhsa_group_segment_fixed_size 68
		.amdhsa_private_segment_fixed_size 0
		.amdhsa_kernarg_size 320
		.amdhsa_user_sgpr_count 6
		.amdhsa_user_sgpr_private_segment_buffer 1
		.amdhsa_user_sgpr_dispatch_ptr 0
		.amdhsa_user_sgpr_queue_ptr 0
		.amdhsa_user_sgpr_kernarg_segment_ptr 1
		.amdhsa_user_sgpr_dispatch_id 0
		.amdhsa_user_sgpr_flat_scratch_init 0
		.amdhsa_user_sgpr_private_segment_size 0
		.amdhsa_uses_dynamic_stack 0
		.amdhsa_system_sgpr_private_segment_wavefront_offset 0
		.amdhsa_system_sgpr_workgroup_id_x 1
		.amdhsa_system_sgpr_workgroup_id_y 0
		.amdhsa_system_sgpr_workgroup_id_z 0
		.amdhsa_system_sgpr_workgroup_info 0
		.amdhsa_system_vgpr_workitem_id 0
		.amdhsa_next_free_vgpr 31
		.amdhsa_next_free_sgpr 24
		.amdhsa_reserve_vcc 1
		.amdhsa_reserve_flat_scratch 0
		.amdhsa_float_round_mode_32 0
		.amdhsa_float_round_mode_16_64 0
		.amdhsa_float_denorm_mode_32 3
		.amdhsa_float_denorm_mode_16_64 3
		.amdhsa_dx10_clamp 1
		.amdhsa_ieee_mode 1
		.amdhsa_fp16_overflow 0
		.amdhsa_exception_fp_ieee_invalid_op 0
		.amdhsa_exception_fp_denorm_src 0
		.amdhsa_exception_fp_ieee_div_zero 0
		.amdhsa_exception_fp_ieee_overflow 0
		.amdhsa_exception_fp_ieee_underflow 0
		.amdhsa_exception_fp_ieee_inexact 0
		.amdhsa_exception_int_div_zero 0
	.end_amdhsa_kernel
	.section	.text._ZN4vllm42fused_add_rms_norm_static_fp8_quant_kernelIN3c104HalfELi8ENS1_13Float8_e4m3fnEEENSt9enable_ifIXaagtT0_Li0Esr12_typeConvertIT_EE6existsEvE4typeEPT1_PS5_iSA_PKS5_PKffii,"axG",@progbits,_ZN4vllm42fused_add_rms_norm_static_fp8_quant_kernelIN3c104HalfELi8ENS1_13Float8_e4m3fnEEENSt9enable_ifIXaagtT0_Li0Esr12_typeConvertIT_EE6existsEvE4typeEPT1_PS5_iSA_PKS5_PKffii,comdat
.Lfunc_end8:
	.size	_ZN4vllm42fused_add_rms_norm_static_fp8_quant_kernelIN3c104HalfELi8ENS1_13Float8_e4m3fnEEENSt9enable_ifIXaagtT0_Li0Esr12_typeConvertIT_EE6existsEvE4typeEPT1_PS5_iSA_PKS5_PKffii, .Lfunc_end8-_ZN4vllm42fused_add_rms_norm_static_fp8_quant_kernelIN3c104HalfELi8ENS1_13Float8_e4m3fnEEENSt9enable_ifIXaagtT0_Li0Esr12_typeConvertIT_EE6existsEvE4typeEPT1_PS5_iSA_PKS5_PKffii
                                        ; -- End function
	.set _ZN4vllm42fused_add_rms_norm_static_fp8_quant_kernelIN3c104HalfELi8ENS1_13Float8_e4m3fnEEENSt9enable_ifIXaagtT0_Li0Esr12_typeConvertIT_EE6existsEvE4typeEPT1_PS5_iSA_PKS5_PKffii.num_vgpr, 31
	.set _ZN4vllm42fused_add_rms_norm_static_fp8_quant_kernelIN3c104HalfELi8ENS1_13Float8_e4m3fnEEENSt9enable_ifIXaagtT0_Li0Esr12_typeConvertIT_EE6existsEvE4typeEPT1_PS5_iSA_PKS5_PKffii.num_agpr, 0
	.set _ZN4vllm42fused_add_rms_norm_static_fp8_quant_kernelIN3c104HalfELi8ENS1_13Float8_e4m3fnEEENSt9enable_ifIXaagtT0_Li0Esr12_typeConvertIT_EE6existsEvE4typeEPT1_PS5_iSA_PKS5_PKffii.numbered_sgpr, 24
	.set _ZN4vllm42fused_add_rms_norm_static_fp8_quant_kernelIN3c104HalfELi8ENS1_13Float8_e4m3fnEEENSt9enable_ifIXaagtT0_Li0Esr12_typeConvertIT_EE6existsEvE4typeEPT1_PS5_iSA_PKS5_PKffii.num_named_barrier, 0
	.set _ZN4vllm42fused_add_rms_norm_static_fp8_quant_kernelIN3c104HalfELi8ENS1_13Float8_e4m3fnEEENSt9enable_ifIXaagtT0_Li0Esr12_typeConvertIT_EE6existsEvE4typeEPT1_PS5_iSA_PKS5_PKffii.private_seg_size, 0
	.set _ZN4vllm42fused_add_rms_norm_static_fp8_quant_kernelIN3c104HalfELi8ENS1_13Float8_e4m3fnEEENSt9enable_ifIXaagtT0_Li0Esr12_typeConvertIT_EE6existsEvE4typeEPT1_PS5_iSA_PKS5_PKffii.uses_vcc, 1
	.set _ZN4vllm42fused_add_rms_norm_static_fp8_quant_kernelIN3c104HalfELi8ENS1_13Float8_e4m3fnEEENSt9enable_ifIXaagtT0_Li0Esr12_typeConvertIT_EE6existsEvE4typeEPT1_PS5_iSA_PKS5_PKffii.uses_flat_scratch, 0
	.set _ZN4vllm42fused_add_rms_norm_static_fp8_quant_kernelIN3c104HalfELi8ENS1_13Float8_e4m3fnEEENSt9enable_ifIXaagtT0_Li0Esr12_typeConvertIT_EE6existsEvE4typeEPT1_PS5_iSA_PKS5_PKffii.has_dyn_sized_stack, 0
	.set _ZN4vllm42fused_add_rms_norm_static_fp8_quant_kernelIN3c104HalfELi8ENS1_13Float8_e4m3fnEEENSt9enable_ifIXaagtT0_Li0Esr12_typeConvertIT_EE6existsEvE4typeEPT1_PS5_iSA_PKS5_PKffii.has_recursion, 0
	.set _ZN4vllm42fused_add_rms_norm_static_fp8_quant_kernelIN3c104HalfELi8ENS1_13Float8_e4m3fnEEENSt9enable_ifIXaagtT0_Li0Esr12_typeConvertIT_EE6existsEvE4typeEPT1_PS5_iSA_PKS5_PKffii.has_indirect_call, 0
	.section	.AMDGPU.csdata,"",@progbits
; Kernel info:
; codeLenInByte = 5200
; TotalNumSgprs: 28
; NumVgprs: 31
; ScratchSize: 0
; MemoryBound: 0
; FloatMode: 240
; IeeeMode: 1
; LDSByteSize: 68 bytes/workgroup (compile time only)
; SGPRBlocks: 3
; VGPRBlocks: 7
; NumSGPRsForWavesPerEU: 28
; NumVGPRsForWavesPerEU: 31
; Occupancy: 8
; WaveLimiterHint : 0
; COMPUTE_PGM_RSRC2:SCRATCH_EN: 0
; COMPUTE_PGM_RSRC2:USER_SGPR: 6
; COMPUTE_PGM_RSRC2:TRAP_HANDLER: 0
; COMPUTE_PGM_RSRC2:TGID_X_EN: 1
; COMPUTE_PGM_RSRC2:TGID_Y_EN: 0
; COMPUTE_PGM_RSRC2:TGID_Z_EN: 0
; COMPUTE_PGM_RSRC2:TIDIG_COMP_CNT: 0
	.section	.text._ZN4vllm42fused_add_rms_norm_static_fp8_quant_kernelIN3c104HalfELi8ENS1_15Float8_e4m3fnuzEEENSt9enable_ifIXaagtT0_Li0Esr12_typeConvertIT_EE6existsEvE4typeEPT1_PS5_iSA_PKS5_PKffii,"axG",@progbits,_ZN4vllm42fused_add_rms_norm_static_fp8_quant_kernelIN3c104HalfELi8ENS1_15Float8_e4m3fnuzEEENSt9enable_ifIXaagtT0_Li0Esr12_typeConvertIT_EE6existsEvE4typeEPT1_PS5_iSA_PKS5_PKffii,comdat
	.protected	_ZN4vllm42fused_add_rms_norm_static_fp8_quant_kernelIN3c104HalfELi8ENS1_15Float8_e4m3fnuzEEENSt9enable_ifIXaagtT0_Li0Esr12_typeConvertIT_EE6existsEvE4typeEPT1_PS5_iSA_PKS5_PKffii ; -- Begin function _ZN4vllm42fused_add_rms_norm_static_fp8_quant_kernelIN3c104HalfELi8ENS1_15Float8_e4m3fnuzEEENSt9enable_ifIXaagtT0_Li0Esr12_typeConvertIT_EE6existsEvE4typeEPT1_PS5_iSA_PKS5_PKffii
	.globl	_ZN4vllm42fused_add_rms_norm_static_fp8_quant_kernelIN3c104HalfELi8ENS1_15Float8_e4m3fnuzEEENSt9enable_ifIXaagtT0_Li0Esr12_typeConvertIT_EE6existsEvE4typeEPT1_PS5_iSA_PKS5_PKffii
	.p2align	8
	.type	_ZN4vllm42fused_add_rms_norm_static_fp8_quant_kernelIN3c104HalfELi8ENS1_15Float8_e4m3fnuzEEENSt9enable_ifIXaagtT0_Li0Esr12_typeConvertIT_EE6existsEvE4typeEPT1_PS5_iSA_PKS5_PKffii,@function
_ZN4vllm42fused_add_rms_norm_static_fp8_quant_kernelIN3c104HalfELi8ENS1_15Float8_e4m3fnuzEEENSt9enable_ifIXaagtT0_Li0Esr12_typeConvertIT_EE6existsEvE4typeEPT1_PS5_iSA_PKS5_PKffii: ; @_ZN4vllm42fused_add_rms_norm_static_fp8_quant_kernelIN3c104HalfELi8ENS1_15Float8_e4m3fnuzEEENSt9enable_ifIXaagtT0_Li0Esr12_typeConvertIT_EE6existsEvE4typeEPT1_PS5_iSA_PKS5_PKffii
; %bb.0:
	s_load_dword s20, s[4:5], 0x38
	s_load_dwordx2 s[12:13], s[4:5], 0x18
                                        ; implicit-def: $sgpr7
	s_waitcnt lgkmcnt(0)
	s_ashr_i32 s0, s20, 31
	s_lshr_b32 s0, s0, 29
	s_add_i32 s0, s20, s0
	s_ashr_i32 s18, s0, 3
	v_cmp_gt_i32_e64 s[0:1], s18, v0
	v_cmp_le_i32_e32 vcc, s18, v0
	s_and_saveexec_b64 s[2:3], vcc
	s_xor_b64 s[2:3], exec, s[2:3]
	s_cbranch_execz .LBB9_2
; %bb.1:
	s_load_dword s7, s[4:5], 0x4c
	s_waitcnt lgkmcnt(0)
	s_and_b32 s7, s7, 0xffff
.LBB9_2:
	s_or_saveexec_b64 s[2:3], s[2:3]
	s_load_dwordx2 s[14:15], s[4:5], 0x0
	s_load_dwordx4 s[8:11], s[4:5], 0x20
	v_mov_b32_e32 v1, 0
	v_mov_b32_e32 v9, s7
	s_mul_i32 s19, s18, s6
	s_xor_b64 exec, exec, s[2:3]
	s_cbranch_execz .LBB9_6
; %bb.3:
	s_load_dword s7, s[4:5], 0x10
	s_load_dword s21, s[4:5], 0x4c
	s_load_dwordx2 s[16:17], s[4:5], 0x8
	v_mov_b32_e32 v1, 0
	v_mov_b32_e32 v3, s13
	s_waitcnt lgkmcnt(0)
	s_ashr_i32 s22, s7, 31
	s_lshr_b32 s22, s22, 29
	s_add_i32 s7, s7, s22
	s_ashr_i32 s22, s7, 3
	s_and_b32 s21, s21, 0xffff
	s_mul_i32 s22, s22, s6
	s_mov_b64 s[6:7], 0
	v_mov_b32_e32 v2, s17
	v_mov_b32_e32 v4, v0
.LBB9_4:                                ; =>This Inner Loop Header: Depth=1
	v_add_u32_e32 v5, s22, v4
	v_ashrrev_i32_e32 v6, 31, v5
	v_add_u32_e32 v7, s19, v4
	v_lshlrev_b64 v[5:6], 4, v[5:6]
	v_ashrrev_i32_e32 v8, 31, v7
	v_lshlrev_b64 v[7:8], 4, v[7:8]
	v_add_co_u32_e32 v13, vcc, s16, v5
	v_addc_co_u32_e32 v14, vcc, v2, v6, vcc
	v_add_co_u32_e32 v15, vcc, s12, v7
	v_addc_co_u32_e32 v16, vcc, v3, v8, vcc
	global_load_dwordx4 v[5:8], v[13:14], off
	global_load_dwordx4 v[9:12], v[15:16], off
	v_add_u32_e32 v4, s21, v4
	v_cmp_le_i32_e32 vcc, s18, v4
	s_or_b64 s[6:7], vcc, s[6:7]
	s_waitcnt vmcnt(0)
	v_pk_add_f16 v5, v5, v9
	v_pk_add_f16 v6, v6, v10
	;; [unrolled: 1-line block ×3, first 2 shown]
	v_cvt_f32_f16_sdwa v9, v5 dst_sel:DWORD dst_unused:UNUSED_PAD src0_sel:WORD_1
	v_cvt_f32_f16_sdwa v10, v6 dst_sel:DWORD dst_unused:UNUSED_PAD src0_sel:WORD_1
	v_pk_add_f16 v8, v8, v12
	v_cvt_f32_f16_sdwa v11, v7 dst_sel:DWORD dst_unused:UNUSED_PAD src0_sel:WORD_1
	v_cvt_f32_f16_sdwa v12, v8 dst_sel:DWORD dst_unused:UNUSED_PAD src0_sel:WORD_1
	v_mul_f32_e32 v9, v9, v9
	v_mul_f32_e32 v10, v10, v10
	global_store_dwordx4 v[15:16], v[5:8], off
	v_mul_f32_e32 v11, v11, v11
	v_fma_mix_f32 v5, v5, v5, v9 op_sel_hi:[1,1,0]
	v_fma_mix_f32 v6, v6, v6, v10 op_sel_hi:[1,1,0]
	v_mul_f32_e32 v12, v12, v12
	v_fma_mix_f32 v7, v7, v7, v11 op_sel_hi:[1,1,0]
	v_add_f32_e32 v5, v5, v6
	v_fma_mix_f32 v8, v8, v8, v12 op_sel_hi:[1,1,0]
	v_add_f32_e32 v5, v5, v7
	v_add_f32_e32 v5, v5, v8
	;; [unrolled: 1-line block ×3, first 2 shown]
	s_andn2_b64 exec, exec, s[6:7]
	s_cbranch_execnz .LBB9_4
; %bb.5:
	s_or_b64 exec, exec, s[6:7]
	v_mov_b32_e32 v9, s21
.LBB9_6:
	s_or_b64 exec, exec, s[2:3]
	v_mbcnt_lo_u32_b32 v2, -1, 0
	v_mbcnt_hi_u32_b32 v2, -1, v2
	v_and_b32_e32 v3, 63, v2
	v_cmp_ne_u32_e32 vcc, 63, v3
	v_addc_co_u32_e32 v4, vcc, 0, v2, vcc
	v_lshlrev_b32_e32 v4, 2, v4
	ds_bpermute_b32 v4, v4, v1
	v_and_b32_e32 v5, 0x3c0, v0
	v_sub_u32_e64 v5, v9, v5 clamp
	v_add_u32_e32 v6, 1, v2
	v_cmp_lt_u32_e32 vcc, v6, v5
	s_waitcnt lgkmcnt(0)
	v_add_f32_e32 v4, v1, v4
	v_cndmask_b32_e32 v1, v1, v4, vcc
	v_cmp_gt_u32_e32 vcc, 62, v3
	v_cndmask_b32_e64 v4, 0, 2, vcc
	v_add_lshl_u32 v4, v4, v2, 2
	ds_bpermute_b32 v4, v4, v1
	v_add_u32_e32 v6, 2, v2
	v_cmp_lt_u32_e32 vcc, v6, v5
	v_add_u32_e32 v6, 4, v2
	s_waitcnt lgkmcnt(0)
	v_add_f32_e32 v4, v1, v4
	v_cndmask_b32_e32 v1, v1, v4, vcc
	v_cmp_gt_u32_e32 vcc, 60, v3
	v_cndmask_b32_e64 v4, 0, 4, vcc
	v_add_lshl_u32 v4, v4, v2, 2
	ds_bpermute_b32 v4, v4, v1
	v_cmp_lt_u32_e32 vcc, v6, v5
	v_add_u32_e32 v6, 8, v2
	s_waitcnt lgkmcnt(0)
	v_add_f32_e32 v4, v1, v4
	v_cndmask_b32_e32 v1, v1, v4, vcc
	v_cmp_gt_u32_e32 vcc, 56, v3
	v_cndmask_b32_e64 v4, 0, 8, vcc
	v_add_lshl_u32 v4, v4, v2, 2
	ds_bpermute_b32 v4, v4, v1
	;; [unrolled: 9-line block ×3, first 2 shown]
	v_add_u32_e32 v4, 16, v2
	v_cmp_lt_u32_e32 vcc, v4, v5
	s_waitcnt lgkmcnt(0)
	v_add_f32_e32 v3, v1, v3
	v_cndmask_b32_e32 v3, v1, v3, vcc
	v_lshlrev_b32_e32 v1, 2, v2
	v_or_b32_e32 v4, 0x80, v1
	ds_bpermute_b32 v4, v4, v3
	v_cmp_lt_u32_e32 vcc, v6, v5
	s_waitcnt lgkmcnt(0)
	v_add_f32_e32 v4, v3, v4
	v_cndmask_b32_e32 v3, v3, v4, vcc
	v_cmp_eq_u32_e32 vcc, 0, v2
	s_and_saveexec_b64 s[2:3], vcc
; %bb.7:
	v_lshrrev_b32_e32 v4, 4, v0
	v_and_b32_e32 v4, 60, v4
	ds_write_b32 v4, v3
; %bb.8:
	s_or_b64 exec, exec, s[2:3]
	v_cmp_gt_u32_e32 vcc, 16, v0
	s_waitcnt vmcnt(0) lgkmcnt(0)
	s_barrier
	s_and_saveexec_b64 s[6:7], vcc
	s_cbranch_execz .LBB9_10
; %bb.9:
	ds_read_b32 v3, v1
	v_and_b32_e32 v4, 15, v2
	v_cmp_ne_u32_e32 vcc, 15, v4
	v_addc_co_u32_e32 v5, vcc, 0, v2, vcc
	v_lshlrev_b32_e32 v5, 2, v5
	s_waitcnt lgkmcnt(0)
	ds_bpermute_b32 v5, v5, v3
	v_add_u32_e32 v6, 63, v9
	v_lshrrev_b32_e32 v6, 6, v6
	v_add_u32_e32 v7, 1, v4
	v_cmp_gt_u32_e64 s[2:3], 14, v4
	s_waitcnt lgkmcnt(0)
	v_add_f32_e32 v5, v3, v5
	v_cmp_lt_u32_e32 vcc, v7, v6
	v_cndmask_b32_e64 v7, 0, 2, s[2:3]
	v_cndmask_b32_e32 v5, v3, v5, vcc
	v_add_lshl_u32 v7, v7, v2, 2
	ds_bpermute_b32 v7, v7, v5
	v_add_u32_e32 v8, 2, v4
	v_cmp_lt_u32_e64 s[2:3], v8, v6
	v_or_b32_e32 v1, 32, v1
	s_waitcnt lgkmcnt(0)
	v_add_f32_e32 v7, v5, v7
	v_cndmask_b32_e64 v5, v5, v7, s[2:3]
	v_cmp_gt_u32_e64 s[2:3], 12, v4
	v_cndmask_b32_e64 v7, 0, 4, s[2:3]
	v_add_lshl_u32 v2, v7, v2, 2
	ds_bpermute_b32 v2, v2, v5
	v_add_u32_e32 v7, 4, v4
	v_cmp_lt_u32_e64 s[2:3], v7, v6
	v_add_u32_e32 v4, 8, v4
	s_waitcnt lgkmcnt(0)
	v_add_f32_e32 v2, v5, v2
	v_cndmask_b32_e64 v2, v5, v2, s[2:3]
	ds_bpermute_b32 v1, v1, v2
	v_cmp_lt_u32_e64 s[2:3], v4, v6
	s_waitcnt lgkmcnt(0)
	v_add_f32_e32 v1, v2, v1
	v_cndmask_b32_e64 v1, v2, v1, s[2:3]
	v_cndmask_b32_e32 v3, v3, v1, vcc
.LBB9_10:
	s_or_b64 exec, exec, s[6:7]
	v_cmp_eq_u32_e32 vcc, 0, v0
	s_and_saveexec_b64 s[2:3], vcc
	s_cbranch_execz .LBB9_12
; %bb.11:
	v_cvt_f32_i32_e32 v1, s20
	s_load_dword s4, s[4:5], 0x30
	s_mov_b32 s5, 0x800000
	v_div_scale_f32 v2, s[6:7], v1, v1, v3
	v_div_scale_f32 v4, vcc, v3, v1, v3
	v_rcp_f32_e32 v5, v2
	v_fma_f32 v6, -v2, v5, 1.0
	v_fmac_f32_e32 v5, v6, v5
	v_mul_f32_e32 v6, v4, v5
	v_fma_f32 v7, -v2, v6, v4
	v_fmac_f32_e32 v6, v7, v5
	v_fma_f32 v2, -v2, v6, v4
	v_div_fmas_f32 v2, v2, v5, v6
	v_div_fixup_f32 v1, v2, v1, v3
	s_waitcnt lgkmcnt(0)
	v_add_f32_e32 v1, s4, v1
	v_mul_f32_e32 v2, 0x4b800000, v1
	v_cmp_gt_f32_e32 vcc, s5, v1
	v_cndmask_b32_e32 v1, v1, v2, vcc
	v_rsq_f32_e32 v1, v1
	v_mul_f32_e32 v2, 0x45800000, v1
	v_cndmask_b32_e32 v1, v1, v2, vcc
	v_mov_b32_e32 v2, 0
	ds_write_b32 v2, v1 offset:64
.LBB9_12:
	s_or_b64 exec, exec, s[2:3]
	s_waitcnt lgkmcnt(0)
	s_barrier
	s_and_saveexec_b64 s[2:3], s[0:1]
	s_cbranch_execz .LBB9_111
; %bb.13:
	s_load_dword s10, s[10:11], 0x0
	v_mov_b32_e32 v11, 0
	v_lshlrev_b32_e32 v3, 4, v0
	ds_read_b32 v24, v11 offset:64
	v_mov_b32_e32 v4, s9
	s_waitcnt lgkmcnt(0)
	v_div_scale_f32 v1, s[0:1], s10, s10, 1.0
	v_div_scale_f32 v2, vcc, 1.0, s10, 1.0
	v_mov_b32_e32 v10, v11
	v_lshlrev_b64 v[14:15], 4, v[9:10]
	v_add_lshl_u32 v20, v0, s19, 3
	v_lshlrev_b32_e32 v21, 3, v9
	s_mov_b64 s[2:3], 0
	v_mov_b32_e32 v22, s13
	s_mov_b64 s[4:5], 0x7f800000
	s_mov_b64 s[6:7], 0x43700001
	s_movk_i32 s13, 0x78
	s_movk_i32 s20, 0x80
	;; [unrolled: 1-line block ×3, first 2 shown]
	v_mov_b32_e32 v23, 0x77
	v_rcp_f32_e32 v5, v1
	v_mov_b32_e32 v26, 0xffffff8a
	v_fma_f32 v6, -v1, v5, 1.0
	v_fmac_f32_e32 v5, v6, v5
	v_mul_f32_e32 v6, v2, v5
	v_fma_f32 v7, -v1, v6, v2
	v_fmac_f32_e32 v6, v7, v5
	v_fma_f32 v1, -v1, v6, v2
	v_div_fmas_f32 v1, v1, v5, v6
	v_add_co_u32_e32 v2, vcc, s8, v3
	v_addc_co_u32_e32 v3, vcc, 0, v4, vcc
	v_add_co_u32_e32 v12, vcc, 8, v2
	v_addc_co_u32_e32 v13, vcc, 0, v3, vcc
	v_div_fixup_f32 v25, v1, s10, 1.0
	s_branch .LBB9_16
.LBB9_14:                               ;   in Loop: Header=BB9_16 Depth=1
	s_or_b64 exec, exec, s[0:1]
.LBB9_15:                               ;   in Loop: Header=BB9_16 Depth=1
	s_or_b64 exec, exec, s[8:9]
	v_add_u32_e32 v0, v0, v9
	v_cmp_le_i32_e32 vcc, s18, v0
	s_or_b64 s[2:3], vcc, s[2:3]
	v_add_co_u32_e32 v12, vcc, v12, v14
	v_add_u32_e32 v20, v20, v21
	v_addc_co_u32_e32 v13, vcc, v13, v15, vcc
	global_store_byte v[16:17], v3, off offset:7
	s_andn2_b64 exec, exec, s[2:3]
	s_cbranch_execz .LBB9_111
.LBB9_16:                               ; =>This Inner Loop Header: Depth=1
	v_add_u32_e32 v1, s19, v0
	v_ashrrev_i32_e32 v2, 31, v1
	v_lshlrev_b64 v[1:2], 4, v[1:2]
	v_mov_b32_e32 v19, 0x80
	v_add_co_u32_e32 v16, vcc, s12, v1
	v_addc_co_u32_e32 v17, vcc, v22, v2, vcc
	global_load_dwordx4 v[1:4], v[16:17], off
	global_load_dwordx4 v[5:8], v[12:13], off offset:-8
	s_waitcnt vmcnt(1)
	v_fma_mixlo_f16 v10, v24, v1, 0 op_sel_hi:[0,1,0]
	v_fma_mixhi_f16 v10, v24, v1, 0 op_sel:[0,1,0] op_sel_hi:[0,1,0]
	s_waitcnt vmcnt(0)
	v_pk_mul_f16 v5, v10, v5
	v_cvt_f32_f16_e32 v1, v5
	v_mul_f32_e32 v1, v25, v1
	v_min_f32_e32 v1, 0x43600000, v1
	v_max_f32_e32 v18, 0xc3600000, v1
	v_and_b32_e32 v10, 0x7f800000, v18
	v_cmp_ne_u64_e32 vcc, s[4:5], v[10:11]
	v_mov_b32_e32 v1, 0x80
	s_and_saveexec_b64 s[8:9], vcc
	s_cbranch_execz .LBB9_28
; %bb.17:                               ;   in Loop: Header=BB9_16 Depth=1
	v_and_b32_e32 v10, 0x7fffffff, v18
	v_cmp_gt_u64_e32 vcc, s[6:7], v[10:11]
                                        ; implicit-def: $vgpr19
	s_and_saveexec_b64 s[0:1], vcc
	s_xor_b64 s[10:11], exec, s[0:1]
	s_cbranch_execz .LBB9_25
; %bb.18:                               ;   in Loop: Header=BB9_16 Depth=1
	v_cmp_ne_u32_e32 vcc, 0, v18
	v_mov_b32_e32 v19, 0
	s_and_saveexec_b64 s[16:17], vcc
	s_cbranch_execz .LBB9_24
; %bb.19:                               ;   in Loop: Header=BB9_16 Depth=1
	v_bfe_u32 v19, v18, 23, 8
	v_sub_u32_e64 v16, s13, v19 clamp
	v_cmp_eq_u32_e32 vcc, 0, v19
	v_and_b32_e32 v10, 0x7fffff, v18
	v_cndmask_b32_e32 v29, v16, v23, vcc
	v_or_b32_e32 v27, 0x800000, v10
	v_add_u32_e32 v16, 20, v29
	v_lshlrev_b64 v[16:17], v16, -1
	v_cndmask_b32_e32 v10, v27, v10, vcc
	v_add_u32_e32 v27, 19, v29
	v_lshlrev_b64 v[27:28], v27, 1
	v_bfi_b32 v17, v17, 0, 0
	v_bfi_b32 v16, v16, 0, v10
	v_cmp_eq_u64_e64 s[0:1], v[16:17], v[27:28]
	v_lshrrev_b64 v[16:17], v29, v[10:11]
	v_add_u32_e32 v10, 0xffffff89, v19
	v_cndmask_b32_e32 v10, v10, v26, vcc
	v_lshrrev_b32_e32 v17, 23, v16
	v_add3_u32 v27, v10, v29, v17
	v_and_b32_e32 v10, 0x100000, v16
	v_cmp_eq_u64_e32 vcc, 0, v[10:11]
	v_add_u32_e32 v28, -1, v27
	s_and_b64 vcc, vcc, s[0:1]
	v_subbrev_co_u32_e32 v10, vcc, 0, v16, vcc
	v_and_b32_e32 v10, 0xfffff, v10
	v_add_u32_e32 v10, v10, v16
	v_cmp_ne_u32_e32 vcc, 0, v28
                                        ; implicit-def: $vgpr16_vgpr17
                                        ; implicit-def: $vgpr19
	s_and_saveexec_b64 s[0:1], vcc
	s_xor_b64 s[0:1], exec, s[0:1]
; %bb.20:                               ;   in Loop: Header=BB9_16 Depth=1
	v_and_b32_e32 v29, 0x1000000, v10
	v_mov_b32_e32 v30, v11
	v_cmp_eq_u64_e32 vcc, 0, v[29:30]
	v_bfe_u32 v16, v10, 24, 1
	v_lshrrev_b64 v[16:17], v16, v[10:11]
	v_cndmask_b32_e32 v19, v27, v28, vcc
; %bb.21:                               ;   in Loop: Header=BB9_16 Depth=1
	s_andn2_saveexec_b64 s[0:1], s[0:1]
; %bb.22:                               ;   in Loop: Header=BB9_16 Depth=1
	v_mov_b32_e32 v17, v11
	v_bfe_u32 v19, v10, 23, 1
	v_mov_b32_e32 v16, v10
; %bb.23:                               ;   in Loop: Header=BB9_16 Depth=1
	s_or_b64 exec, exec, s[0:1]
	v_lshrrev_b64 v[16:17], 20, v[16:17]
	v_cmp_gt_i32_e32 vcc, 16, v19
	v_cndmask_b32_e32 v17, 0, v17, vcc
	v_cndmask_b32_e32 v16, 7, v16, vcc
	v_and_b32_sdwa v10, v18, s20 dst_sel:DWORD dst_unused:UNUSED_PAD src0_sel:BYTE_3 src1_sel:DWORD
	v_min_i32_e32 v18, 15, v19
	v_cmp_eq_u64_e64 s[0:1], 0, v[16:17]
	v_cmp_eq_u32_e32 vcc, 0, v19
	v_lshl_or_b32 v10, v18, 3, v10
	v_and_or_b32 v10, v16, 7, v10
	s_and_b64 s[0:1], vcc, s[0:1]
	v_cndmask_b32_e64 v19, v10, 0, s[0:1]
.LBB9_24:                               ;   in Loop: Header=BB9_16 Depth=1
	s_or_b64 exec, exec, s[16:17]
                                        ; implicit-def: $vgpr18
.LBB9_25:                               ;   in Loop: Header=BB9_16 Depth=1
	s_andn2_saveexec_b64 s[0:1], s[10:11]
; %bb.26:                               ;   in Loop: Header=BB9_16 Depth=1
	v_or_b32_sdwa v19, v18, s21 dst_sel:DWORD dst_unused:UNUSED_PAD src0_sel:BYTE_3 src1_sel:DWORD
; %bb.27:                               ;   in Loop: Header=BB9_16 Depth=1
	s_or_b64 exec, exec, s[0:1]
.LBB9_28:                               ;   in Loop: Header=BB9_16 Depth=1
	s_or_b64 exec, exec, s[8:9]
	v_cvt_f32_f16_sdwa v5, v5 dst_sel:DWORD dst_unused:UNUSED_PAD src0_sel:WORD_1
	v_ashrrev_i32_e32 v10, 31, v20
	v_mov_b32_e32 v17, s15
	v_add_co_u32_e32 v16, vcc, s14, v20
	v_mul_f32_e32 v5, v25, v5
	v_min_f32_e32 v5, 0x43600000, v5
	v_max_f32_e32 v5, 0xc3600000, v5
	v_addc_co_u32_e32 v17, vcc, v17, v10, vcc
	v_and_b32_e32 v10, 0x7f800000, v5
	v_cmp_ne_u64_e32 vcc, s[4:5], v[10:11]
	global_store_byte v[16:17], v19, off
	s_and_saveexec_b64 s[8:9], vcc
	s_cbranch_execz .LBB9_40
; %bb.29:                               ;   in Loop: Header=BB9_16 Depth=1
	v_and_b32_e32 v10, 0x7fffffff, v5
	v_cmp_gt_u64_e32 vcc, s[6:7], v[10:11]
                                        ; implicit-def: $vgpr1
	s_and_saveexec_b64 s[0:1], vcc
	s_xor_b64 s[10:11], exec, s[0:1]
	s_cbranch_execz .LBB9_37
; %bb.30:                               ;   in Loop: Header=BB9_16 Depth=1
	v_cmp_ne_u32_e32 vcc, 0, v5
	v_mov_b32_e32 v1, 0
	s_and_saveexec_b64 s[16:17], vcc
	s_cbranch_execz .LBB9_36
; %bb.31:                               ;   in Loop: Header=BB9_16 Depth=1
	v_bfe_u32 v29, v5, 23, 8
	v_sub_u32_e64 v10, s13, v29 clamp
	v_cmp_eq_u32_e32 vcc, 0, v29
	v_and_b32_e32 v1, 0x7fffff, v5
	v_cndmask_b32_e32 v30, v10, v23, vcc
	v_or_b32_e32 v27, 0x800000, v1
	v_add_u32_e32 v10, 20, v30
	v_lshlrev_b64 v[18:19], v10, -1
	v_cndmask_b32_e32 v10, v27, v1, vcc
	v_add_u32_e32 v1, 19, v30
	v_lshlrev_b64 v[27:28], v1, 1
	v_bfi_b32 v19, v19, 0, 0
	v_bfi_b32 v18, v18, 0, v10
	v_cmp_eq_u64_e64 s[0:1], v[18:19], v[27:28]
	v_lshrrev_b64 v[18:19], v30, v[10:11]
	v_add_u32_e32 v1, 0xffffff89, v29
	v_cndmask_b32_e32 v1, v1, v26, vcc
	v_lshrrev_b32_e32 v10, 23, v18
	v_add3_u32 v27, v1, v30, v10
	v_and_b32_e32 v10, 0x100000, v18
	v_cmp_eq_u64_e32 vcc, 0, v[10:11]
	v_add_u32_e32 v28, -1, v27
	s_and_b64 vcc, vcc, s[0:1]
	v_subbrev_co_u32_e32 v1, vcc, 0, v18, vcc
	v_and_b32_e32 v1, 0xfffff, v1
	v_add_u32_e32 v10, v1, v18
	v_cmp_ne_u32_e32 vcc, 0, v28
                                        ; implicit-def: $vgpr18_vgpr19
                                        ; implicit-def: $vgpr1
	s_and_saveexec_b64 s[0:1], vcc
	s_xor_b64 s[0:1], exec, s[0:1]
; %bb.32:                               ;   in Loop: Header=BB9_16 Depth=1
	v_and_b32_e32 v29, 0x1000000, v10
	v_mov_b32_e32 v30, v11
	v_bfe_u32 v1, v10, 24, 1
	v_cmp_eq_u64_e32 vcc, 0, v[29:30]
	v_lshrrev_b64 v[18:19], v1, v[10:11]
	v_cndmask_b32_e32 v1, v27, v28, vcc
; %bb.33:                               ;   in Loop: Header=BB9_16 Depth=1
	s_andn2_saveexec_b64 s[0:1], s[0:1]
; %bb.34:                               ;   in Loop: Header=BB9_16 Depth=1
	v_mov_b32_e32 v19, v11
	v_bfe_u32 v1, v10, 23, 1
	v_mov_b32_e32 v18, v10
; %bb.35:                               ;   in Loop: Header=BB9_16 Depth=1
	s_or_b64 exec, exec, s[0:1]
	v_lshrrev_b64 v[18:19], 20, v[18:19]
	v_cmp_gt_i32_e32 vcc, 16, v1
	v_cndmask_b32_e32 v19, 0, v19, vcc
	v_cndmask_b32_e32 v18, 7, v18, vcc
	v_and_b32_sdwa v5, v5, s20 dst_sel:DWORD dst_unused:UNUSED_PAD src0_sel:BYTE_3 src1_sel:DWORD
	v_min_i32_e32 v10, 15, v1
	v_cmp_eq_u64_e64 s[0:1], 0, v[18:19]
	v_cmp_eq_u32_e32 vcc, 0, v1
	v_lshl_or_b32 v1, v10, 3, v5
	v_and_or_b32 v1, v18, 7, v1
	s_and_b64 s[0:1], vcc, s[0:1]
	v_cndmask_b32_e64 v1, v1, 0, s[0:1]
.LBB9_36:                               ;   in Loop: Header=BB9_16 Depth=1
	s_or_b64 exec, exec, s[16:17]
                                        ; implicit-def: $vgpr5
.LBB9_37:                               ;   in Loop: Header=BB9_16 Depth=1
	s_andn2_saveexec_b64 s[0:1], s[10:11]
; %bb.38:                               ;   in Loop: Header=BB9_16 Depth=1
	v_or_b32_sdwa v1, v5, s21 dst_sel:DWORD dst_unused:UNUSED_PAD src0_sel:BYTE_3 src1_sel:DWORD
; %bb.39:                               ;   in Loop: Header=BB9_16 Depth=1
	s_or_b64 exec, exec, s[0:1]
.LBB9_40:                               ;   in Loop: Header=BB9_16 Depth=1
	s_or_b64 exec, exec, s[8:9]
	v_fma_mixlo_f16 v5, v24, v2, 0 op_sel_hi:[0,1,0]
	v_fma_mixhi_f16 v5, v24, v2, 0 op_sel:[0,1,0] op_sel_hi:[0,1,0]
	v_pk_mul_f16 v6, v5, v6
	v_cvt_f32_f16_e32 v2, v6
	global_store_byte v[16:17], v1, off offset:1
	v_mov_b32_e32 v5, 0x80
	v_mul_f32_e32 v1, v25, v2
	v_min_f32_e32 v1, 0x43600000, v1
	v_max_f32_e32 v18, 0xc3600000, v1
	v_and_b32_e32 v10, 0x7f800000, v18
	v_cmp_ne_u64_e32 vcc, s[4:5], v[10:11]
	v_mov_b32_e32 v1, 0x80
	s_and_saveexec_b64 s[8:9], vcc
	s_cbranch_execz .LBB9_52
; %bb.41:                               ;   in Loop: Header=BB9_16 Depth=1
	v_and_b32_e32 v10, 0x7fffffff, v18
	v_cmp_gt_u64_e32 vcc, s[6:7], v[10:11]
                                        ; implicit-def: $vgpr1
	s_and_saveexec_b64 s[0:1], vcc
	s_xor_b64 s[10:11], exec, s[0:1]
	s_cbranch_execz .LBB9_49
; %bb.42:                               ;   in Loop: Header=BB9_16 Depth=1
	v_cmp_ne_u32_e32 vcc, 0, v18
	v_mov_b32_e32 v1, 0
	s_and_saveexec_b64 s[16:17], vcc
	s_cbranch_execz .LBB9_48
; %bb.43:                               ;   in Loop: Header=BB9_16 Depth=1
	v_bfe_u32 v19, v18, 23, 8
	v_sub_u32_e64 v1, s13, v19 clamp
	v_cmp_eq_u32_e32 vcc, 0, v19
	v_and_b32_e32 v10, 0x7fffff, v18
	v_cndmask_b32_e32 v29, v1, v23, vcc
	v_or_b32_e32 v27, 0x800000, v10
	v_add_u32_e32 v1, 20, v29
	v_lshlrev_b64 v[1:2], v1, -1
	v_cndmask_b32_e32 v10, v27, v10, vcc
	v_add_u32_e32 v27, 19, v29
	v_lshlrev_b64 v[27:28], v27, 1
	v_bfi_b32 v2, v2, 0, 0
	v_bfi_b32 v1, v1, 0, v10
	v_cmp_eq_u64_e64 s[0:1], v[1:2], v[27:28]
	v_lshrrev_b64 v[1:2], v29, v[10:11]
	v_add_u32_e32 v2, 0xffffff89, v19
	v_cndmask_b32_e32 v2, v2, v26, vcc
	v_lshrrev_b32_e32 v10, 23, v1
	v_add3_u32 v27, v2, v29, v10
	v_and_b32_e32 v10, 0x100000, v1
	v_cmp_eq_u64_e32 vcc, 0, v[10:11]
	v_add_u32_e32 v28, -1, v27
	s_and_b64 vcc, vcc, s[0:1]
	v_subbrev_co_u32_e32 v2, vcc, 0, v1, vcc
	v_and_b32_e32 v2, 0xfffff, v2
	v_add_u32_e32 v10, v2, v1
	v_cmp_ne_u32_e32 vcc, 0, v28
                                        ; implicit-def: $vgpr1_vgpr2
                                        ; implicit-def: $vgpr19
	s_and_saveexec_b64 s[0:1], vcc
	s_xor_b64 s[0:1], exec, s[0:1]
; %bb.44:                               ;   in Loop: Header=BB9_16 Depth=1
	v_and_b32_e32 v29, 0x1000000, v10
	v_mov_b32_e32 v30, v11
	v_bfe_u32 v1, v10, 24, 1
	v_cmp_eq_u64_e32 vcc, 0, v[29:30]
	v_lshrrev_b64 v[1:2], v1, v[10:11]
	v_cndmask_b32_e32 v19, v27, v28, vcc
; %bb.45:                               ;   in Loop: Header=BB9_16 Depth=1
	s_andn2_saveexec_b64 s[0:1], s[0:1]
; %bb.46:                               ;   in Loop: Header=BB9_16 Depth=1
	v_mov_b32_e32 v1, v10
	v_bfe_u32 v19, v10, 23, 1
	v_mov_b32_e32 v2, v11
; %bb.47:                               ;   in Loop: Header=BB9_16 Depth=1
	s_or_b64 exec, exec, s[0:1]
	v_lshrrev_b64 v[1:2], 20, v[1:2]
	v_cmp_gt_i32_e32 vcc, 16, v19
	v_cndmask_b32_e32 v2, 0, v2, vcc
	v_cndmask_b32_e32 v1, 7, v1, vcc
	v_and_b32_sdwa v10, v18, s20 dst_sel:DWORD dst_unused:UNUSED_PAD src0_sel:BYTE_3 src1_sel:DWORD
	v_min_i32_e32 v18, 15, v19
	v_cmp_eq_u64_e64 s[0:1], 0, v[1:2]
	v_cmp_eq_u32_e32 vcc, 0, v19
	v_lshl_or_b32 v2, v18, 3, v10
	v_and_or_b32 v1, v1, 7, v2
	s_and_b64 s[0:1], vcc, s[0:1]
	v_cndmask_b32_e64 v1, v1, 0, s[0:1]
.LBB9_48:                               ;   in Loop: Header=BB9_16 Depth=1
	s_or_b64 exec, exec, s[16:17]
                                        ; implicit-def: $vgpr18
.LBB9_49:                               ;   in Loop: Header=BB9_16 Depth=1
	s_andn2_saveexec_b64 s[0:1], s[10:11]
; %bb.50:                               ;   in Loop: Header=BB9_16 Depth=1
	v_or_b32_sdwa v1, v18, s21 dst_sel:DWORD dst_unused:UNUSED_PAD src0_sel:BYTE_3 src1_sel:DWORD
; %bb.51:                               ;   in Loop: Header=BB9_16 Depth=1
	s_or_b64 exec, exec, s[0:1]
.LBB9_52:                               ;   in Loop: Header=BB9_16 Depth=1
	s_or_b64 exec, exec, s[8:9]
	v_cvt_f32_f16_sdwa v2, v6 dst_sel:DWORD dst_unused:UNUSED_PAD src0_sel:WORD_1
	global_store_byte v[16:17], v1, off offset:2
	v_mul_f32_e32 v2, v25, v2
	v_min_f32_e32 v2, 0x43600000, v2
	v_max_f32_e32 v6, 0xc3600000, v2
	v_and_b32_e32 v10, 0x7f800000, v6
	v_cmp_ne_u64_e32 vcc, s[4:5], v[10:11]
	s_and_saveexec_b64 s[8:9], vcc
	s_cbranch_execz .LBB9_64
; %bb.53:                               ;   in Loop: Header=BB9_16 Depth=1
	v_and_b32_e32 v10, 0x7fffffff, v6
	v_cmp_gt_u64_e32 vcc, s[6:7], v[10:11]
                                        ; implicit-def: $vgpr5
	s_and_saveexec_b64 s[0:1], vcc
	s_xor_b64 s[10:11], exec, s[0:1]
	s_cbranch_execz .LBB9_61
; %bb.54:                               ;   in Loop: Header=BB9_16 Depth=1
	v_cmp_ne_u32_e32 vcc, 0, v6
	v_mov_b32_e32 v5, 0
	s_and_saveexec_b64 s[16:17], vcc
	s_cbranch_execz .LBB9_60
; %bb.55:                               ;   in Loop: Header=BB9_16 Depth=1
	v_bfe_u32 v27, v6, 23, 8
	v_sub_u32_e64 v1, s13, v27 clamp
	v_cmp_eq_u32_e32 vcc, 0, v27
	v_and_b32_e32 v5, 0x7fffff, v6
	v_cndmask_b32_e32 v28, v1, v23, vcc
	v_or_b32_e32 v10, 0x800000, v5
	v_add_u32_e32 v1, 20, v28
	v_lshlrev_b64 v[1:2], v1, -1
	v_cndmask_b32_e32 v10, v10, v5, vcc
	v_add_u32_e32 v5, 19, v28
	v_lshlrev_b64 v[18:19], v5, 1
	v_bfi_b32 v2, v2, 0, 0
	v_bfi_b32 v1, v1, 0, v10
	v_cmp_eq_u64_e64 s[0:1], v[1:2], v[18:19]
	v_lshrrev_b64 v[1:2], v28, v[10:11]
	v_add_u32_e32 v2, 0xffffff89, v27
	v_and_b32_e32 v10, 0x100000, v1
	v_cndmask_b32_e32 v2, v2, v26, vcc
	v_cmp_eq_u64_e32 vcc, 0, v[10:11]
	v_lshrrev_b32_e32 v5, 23, v1
	s_and_b64 vcc, vcc, s[0:1]
	v_add3_u32 v18, v2, v28, v5
	v_subbrev_co_u32_e32 v2, vcc, 0, v1, vcc
	v_add_u32_e32 v19, -1, v18
	v_and_b32_e32 v2, 0xfffff, v2
	v_add_u32_e32 v10, v2, v1
	v_cmp_ne_u32_e32 vcc, 0, v19
                                        ; implicit-def: $vgpr1_vgpr2
                                        ; implicit-def: $vgpr5
	s_and_saveexec_b64 s[0:1], vcc
	s_xor_b64 s[0:1], exec, s[0:1]
; %bb.56:                               ;   in Loop: Header=BB9_16 Depth=1
	v_and_b32_e32 v27, 0x1000000, v10
	v_mov_b32_e32 v28, v11
	v_bfe_u32 v1, v10, 24, 1
	v_cmp_eq_u64_e32 vcc, 0, v[27:28]
	v_lshrrev_b64 v[1:2], v1, v[10:11]
	v_cndmask_b32_e32 v5, v18, v19, vcc
; %bb.57:                               ;   in Loop: Header=BB9_16 Depth=1
	s_andn2_saveexec_b64 s[0:1], s[0:1]
; %bb.58:                               ;   in Loop: Header=BB9_16 Depth=1
	v_mov_b32_e32 v1, v10
	v_bfe_u32 v5, v10, 23, 1
	v_mov_b32_e32 v2, v11
; %bb.59:                               ;   in Loop: Header=BB9_16 Depth=1
	s_or_b64 exec, exec, s[0:1]
	v_lshrrev_b64 v[1:2], 20, v[1:2]
	v_cmp_gt_i32_e32 vcc, 16, v5
	v_cndmask_b32_e32 v2, 0, v2, vcc
	v_cndmask_b32_e32 v1, 7, v1, vcc
	v_and_b32_sdwa v6, v6, s20 dst_sel:DWORD dst_unused:UNUSED_PAD src0_sel:BYTE_3 src1_sel:DWORD
	v_min_i32_e32 v10, 15, v5
	v_cmp_eq_u64_e64 s[0:1], 0, v[1:2]
	v_cmp_eq_u32_e32 vcc, 0, v5
	v_lshl_or_b32 v2, v10, 3, v6
	v_and_or_b32 v1, v1, 7, v2
	s_and_b64 s[0:1], vcc, s[0:1]
	v_cndmask_b32_e64 v5, v1, 0, s[0:1]
.LBB9_60:                               ;   in Loop: Header=BB9_16 Depth=1
	s_or_b64 exec, exec, s[16:17]
                                        ; implicit-def: $vgpr6
.LBB9_61:                               ;   in Loop: Header=BB9_16 Depth=1
	s_andn2_saveexec_b64 s[0:1], s[10:11]
; %bb.62:                               ;   in Loop: Header=BB9_16 Depth=1
	v_or_b32_sdwa v5, v6, s21 dst_sel:DWORD dst_unused:UNUSED_PAD src0_sel:BYTE_3 src1_sel:DWORD
; %bb.63:                               ;   in Loop: Header=BB9_16 Depth=1
	s_or_b64 exec, exec, s[0:1]
.LBB9_64:                               ;   in Loop: Header=BB9_16 Depth=1
	s_or_b64 exec, exec, s[8:9]
	v_fma_mixlo_f16 v1, v24, v3, 0 op_sel_hi:[0,1,0]
	v_fma_mixhi_f16 v1, v24, v3, 0 op_sel:[0,1,0] op_sel_hi:[0,1,0]
	v_pk_mul_f16 v6, v1, v7
	v_cvt_f32_f16_e32 v1, v6
	global_store_byte v[16:17], v5, off offset:3
	v_mov_b32_e32 v3, 0x80
	v_mul_f32_e32 v1, v25, v1
	v_min_f32_e32 v1, 0x43600000, v1
	v_max_f32_e32 v5, 0xc3600000, v1
	v_and_b32_e32 v10, 0x7f800000, v5
	v_cmp_ne_u64_e32 vcc, s[4:5], v[10:11]
	v_mov_b32_e32 v1, 0x80
	s_and_saveexec_b64 s[8:9], vcc
	s_cbranch_execz .LBB9_76
; %bb.65:                               ;   in Loop: Header=BB9_16 Depth=1
	v_and_b32_e32 v10, 0x7fffffff, v5
	v_cmp_gt_u64_e32 vcc, s[6:7], v[10:11]
                                        ; implicit-def: $vgpr1
	s_and_saveexec_b64 s[0:1], vcc
	s_xor_b64 s[10:11], exec, s[0:1]
	s_cbranch_execz .LBB9_73
; %bb.66:                               ;   in Loop: Header=BB9_16 Depth=1
	v_cmp_ne_u32_e32 vcc, 0, v5
	v_mov_b32_e32 v1, 0
	s_and_saveexec_b64 s[16:17], vcc
	s_cbranch_execz .LBB9_72
; %bb.67:                               ;   in Loop: Header=BB9_16 Depth=1
	v_bfe_u32 v27, v5, 23, 8
	v_sub_u32_e64 v1, s13, v27 clamp
	v_cmp_eq_u32_e32 vcc, 0, v27
	v_and_b32_e32 v7, 0x7fffff, v5
	v_cndmask_b32_e32 v28, v1, v23, vcc
	v_or_b32_e32 v10, 0x800000, v7
	v_add_u32_e32 v1, 20, v28
	v_lshlrev_b64 v[1:2], v1, -1
	v_cndmask_b32_e32 v10, v10, v7, vcc
	v_add_u32_e32 v7, 19, v28
	v_lshlrev_b64 v[18:19], v7, 1
	v_bfi_b32 v2, v2, 0, 0
	v_bfi_b32 v1, v1, 0, v10
	v_cmp_eq_u64_e64 s[0:1], v[1:2], v[18:19]
	v_lshrrev_b64 v[1:2], v28, v[10:11]
	v_add_u32_e32 v2, 0xffffff89, v27
	v_and_b32_e32 v10, 0x100000, v1
	v_cndmask_b32_e32 v2, v2, v26, vcc
	v_cmp_eq_u64_e32 vcc, 0, v[10:11]
	v_lshrrev_b32_e32 v7, 23, v1
	s_and_b64 vcc, vcc, s[0:1]
	v_add3_u32 v18, v2, v28, v7
	v_subbrev_co_u32_e32 v2, vcc, 0, v1, vcc
	v_add_u32_e32 v19, -1, v18
	v_and_b32_e32 v2, 0xfffff, v2
	v_add_u32_e32 v10, v2, v1
	v_cmp_ne_u32_e32 vcc, 0, v19
                                        ; implicit-def: $vgpr1_vgpr2
                                        ; implicit-def: $vgpr7
	s_and_saveexec_b64 s[0:1], vcc
	s_xor_b64 s[0:1], exec, s[0:1]
; %bb.68:                               ;   in Loop: Header=BB9_16 Depth=1
	v_and_b32_e32 v27, 0x1000000, v10
	v_mov_b32_e32 v28, v11
	v_bfe_u32 v1, v10, 24, 1
	v_cmp_eq_u64_e32 vcc, 0, v[27:28]
	v_lshrrev_b64 v[1:2], v1, v[10:11]
	v_cndmask_b32_e32 v7, v18, v19, vcc
; %bb.69:                               ;   in Loop: Header=BB9_16 Depth=1
	s_andn2_saveexec_b64 s[0:1], s[0:1]
; %bb.70:                               ;   in Loop: Header=BB9_16 Depth=1
	v_mov_b32_e32 v1, v10
	v_bfe_u32 v7, v10, 23, 1
	v_mov_b32_e32 v2, v11
; %bb.71:                               ;   in Loop: Header=BB9_16 Depth=1
	s_or_b64 exec, exec, s[0:1]
	v_lshrrev_b64 v[1:2], 20, v[1:2]
	v_cmp_gt_i32_e32 vcc, 16, v7
	v_cndmask_b32_e32 v2, 0, v2, vcc
	v_cndmask_b32_e32 v1, 7, v1, vcc
	v_and_b32_sdwa v5, v5, s20 dst_sel:DWORD dst_unused:UNUSED_PAD src0_sel:BYTE_3 src1_sel:DWORD
	v_min_i32_e32 v10, 15, v7
	v_cmp_eq_u64_e64 s[0:1], 0, v[1:2]
	v_cmp_eq_u32_e32 vcc, 0, v7
	v_lshl_or_b32 v2, v10, 3, v5
	v_and_or_b32 v1, v1, 7, v2
	s_and_b64 s[0:1], vcc, s[0:1]
	v_cndmask_b32_e64 v1, v1, 0, s[0:1]
.LBB9_72:                               ;   in Loop: Header=BB9_16 Depth=1
	s_or_b64 exec, exec, s[16:17]
                                        ; implicit-def: $vgpr5
.LBB9_73:                               ;   in Loop: Header=BB9_16 Depth=1
	s_andn2_saveexec_b64 s[0:1], s[10:11]
; %bb.74:                               ;   in Loop: Header=BB9_16 Depth=1
	v_or_b32_sdwa v1, v5, s21 dst_sel:DWORD dst_unused:UNUSED_PAD src0_sel:BYTE_3 src1_sel:DWORD
; %bb.75:                               ;   in Loop: Header=BB9_16 Depth=1
	s_or_b64 exec, exec, s[0:1]
.LBB9_76:                               ;   in Loop: Header=BB9_16 Depth=1
	s_or_b64 exec, exec, s[8:9]
	v_cvt_f32_f16_sdwa v2, v6 dst_sel:DWORD dst_unused:UNUSED_PAD src0_sel:WORD_1
	global_store_byte v[16:17], v1, off offset:4
	v_mul_f32_e32 v2, v25, v2
	v_min_f32_e32 v2, 0x43600000, v2
	v_max_f32_e32 v5, 0xc3600000, v2
	v_and_b32_e32 v10, 0x7f800000, v5
	v_cmp_ne_u64_e32 vcc, s[4:5], v[10:11]
	s_and_saveexec_b64 s[8:9], vcc
	s_cbranch_execz .LBB9_88
; %bb.77:                               ;   in Loop: Header=BB9_16 Depth=1
	v_and_b32_e32 v10, 0x7fffffff, v5
	v_cmp_gt_u64_e32 vcc, s[6:7], v[10:11]
                                        ; implicit-def: $vgpr3
	s_and_saveexec_b64 s[0:1], vcc
	s_xor_b64 s[10:11], exec, s[0:1]
	s_cbranch_execz .LBB9_85
; %bb.78:                               ;   in Loop: Header=BB9_16 Depth=1
	v_cmp_ne_u32_e32 vcc, 0, v5
	v_mov_b32_e32 v3, 0
	s_and_saveexec_b64 s[16:17], vcc
	s_cbranch_execz .LBB9_84
; %bb.79:                               ;   in Loop: Header=BB9_16 Depth=1
	v_bfe_u32 v18, v5, 23, 8
	v_sub_u32_e64 v1, s13, v18 clamp
	v_cmp_eq_u32_e32 vcc, 0, v18
	v_and_b32_e32 v3, 0x7fffff, v5
	v_cndmask_b32_e32 v19, v1, v23, vcc
	v_or_b32_e32 v6, 0x800000, v3
	v_add_u32_e32 v1, 20, v19
	v_lshlrev_b64 v[1:2], v1, -1
	v_cndmask_b32_e32 v10, v6, v3, vcc
	v_add_u32_e32 v3, 19, v19
	v_lshlrev_b64 v[6:7], v3, 1
	v_bfi_b32 v2, v2, 0, 0
	v_bfi_b32 v1, v1, 0, v10
	v_cmp_eq_u64_e64 s[0:1], v[1:2], v[6:7]
	v_lshrrev_b64 v[1:2], v19, v[10:11]
	v_add_u32_e32 v2, 0xffffff89, v18
	v_and_b32_e32 v10, 0x100000, v1
	v_cndmask_b32_e32 v2, v2, v26, vcc
	v_cmp_eq_u64_e32 vcc, 0, v[10:11]
	v_lshrrev_b32_e32 v3, 23, v1
	s_and_b64 vcc, vcc, s[0:1]
	v_add3_u32 v6, v2, v19, v3
	v_subbrev_co_u32_e32 v2, vcc, 0, v1, vcc
	v_add_u32_e32 v7, -1, v6
	v_and_b32_e32 v2, 0xfffff, v2
	v_add_u32_e32 v10, v2, v1
	v_cmp_ne_u32_e32 vcc, 0, v7
                                        ; implicit-def: $vgpr1_vgpr2
                                        ; implicit-def: $vgpr3
	s_and_saveexec_b64 s[0:1], vcc
	s_xor_b64 s[0:1], exec, s[0:1]
; %bb.80:                               ;   in Loop: Header=BB9_16 Depth=1
	v_and_b32_e32 v18, 0x1000000, v10
	v_mov_b32_e32 v19, v11
	v_bfe_u32 v1, v10, 24, 1
	v_cmp_eq_u64_e32 vcc, 0, v[18:19]
	v_lshrrev_b64 v[1:2], v1, v[10:11]
	v_cndmask_b32_e32 v3, v6, v7, vcc
; %bb.81:                               ;   in Loop: Header=BB9_16 Depth=1
	s_andn2_saveexec_b64 s[0:1], s[0:1]
; %bb.82:                               ;   in Loop: Header=BB9_16 Depth=1
	v_mov_b32_e32 v1, v10
	v_bfe_u32 v3, v10, 23, 1
	v_mov_b32_e32 v2, v11
; %bb.83:                               ;   in Loop: Header=BB9_16 Depth=1
	s_or_b64 exec, exec, s[0:1]
	v_lshrrev_b64 v[1:2], 20, v[1:2]
	v_cmp_gt_i32_e32 vcc, 16, v3
	v_cndmask_b32_e32 v2, 0, v2, vcc
	v_cndmask_b32_e32 v1, 7, v1, vcc
	v_and_b32_sdwa v5, v5, s20 dst_sel:DWORD dst_unused:UNUSED_PAD src0_sel:BYTE_3 src1_sel:DWORD
	v_min_i32_e32 v6, 15, v3
	v_cmp_eq_u64_e64 s[0:1], 0, v[1:2]
	v_cmp_eq_u32_e32 vcc, 0, v3
	v_lshl_or_b32 v2, v6, 3, v5
	v_and_or_b32 v1, v1, 7, v2
	s_and_b64 s[0:1], vcc, s[0:1]
	v_cndmask_b32_e64 v3, v1, 0, s[0:1]
.LBB9_84:                               ;   in Loop: Header=BB9_16 Depth=1
	s_or_b64 exec, exec, s[16:17]
                                        ; implicit-def: $vgpr5
.LBB9_85:                               ;   in Loop: Header=BB9_16 Depth=1
	s_andn2_saveexec_b64 s[0:1], s[10:11]
; %bb.86:                               ;   in Loop: Header=BB9_16 Depth=1
	v_or_b32_sdwa v3, v5, s21 dst_sel:DWORD dst_unused:UNUSED_PAD src0_sel:BYTE_3 src1_sel:DWORD
; %bb.87:                               ;   in Loop: Header=BB9_16 Depth=1
	s_or_b64 exec, exec, s[0:1]
.LBB9_88:                               ;   in Loop: Header=BB9_16 Depth=1
	s_or_b64 exec, exec, s[8:9]
	v_fma_mixlo_f16 v1, v24, v4, 0 op_sel_hi:[0,1,0]
	v_fma_mixhi_f16 v1, v24, v4, 0 op_sel:[0,1,0] op_sel_hi:[0,1,0]
	v_pk_mul_f16 v4, v1, v8
	v_cvt_f32_f16_e32 v1, v4
	global_store_byte v[16:17], v3, off offset:5
	v_mov_b32_e32 v3, 0x80
	v_mul_f32_e32 v1, v25, v1
	v_min_f32_e32 v1, 0x43600000, v1
	v_max_f32_e32 v5, 0xc3600000, v1
	v_and_b32_e32 v10, 0x7f800000, v5
	v_cmp_ne_u64_e32 vcc, s[4:5], v[10:11]
	v_mov_b32_e32 v1, 0x80
	s_and_saveexec_b64 s[8:9], vcc
	s_cbranch_execz .LBB9_100
; %bb.89:                               ;   in Loop: Header=BB9_16 Depth=1
	v_and_b32_e32 v10, 0x7fffffff, v5
	v_cmp_gt_u64_e32 vcc, s[6:7], v[10:11]
                                        ; implicit-def: $vgpr1
	s_and_saveexec_b64 s[0:1], vcc
	s_xor_b64 s[10:11], exec, s[0:1]
	s_cbranch_execz .LBB9_97
; %bb.90:                               ;   in Loop: Header=BB9_16 Depth=1
	v_cmp_ne_u32_e32 vcc, 0, v5
	v_mov_b32_e32 v1, 0
	s_and_saveexec_b64 s[16:17], vcc
	s_cbranch_execz .LBB9_96
; %bb.91:                               ;   in Loop: Header=BB9_16 Depth=1
	v_bfe_u32 v8, v5, 23, 8
	v_sub_u32_e64 v1, s13, v8 clamp
	v_cmp_eq_u32_e32 vcc, 0, v8
	v_and_b32_e32 v6, 0x7fffff, v5
	v_cndmask_b32_e32 v18, v1, v23, vcc
	v_or_b32_e32 v7, 0x800000, v6
	v_add_u32_e32 v1, 20, v18
	v_lshlrev_b64 v[1:2], v1, -1
	v_cndmask_b32_e32 v10, v7, v6, vcc
	v_add_u32_e32 v6, 19, v18
	v_lshlrev_b64 v[6:7], v6, 1
	v_bfi_b32 v2, v2, 0, 0
	v_bfi_b32 v1, v1, 0, v10
	v_cmp_eq_u64_e64 s[0:1], v[1:2], v[6:7]
	v_lshrrev_b64 v[1:2], v18, v[10:11]
	v_add_u32_e32 v2, 0xffffff89, v8
	v_and_b32_e32 v10, 0x100000, v1
	v_cndmask_b32_e32 v2, v2, v26, vcc
	v_cmp_eq_u64_e32 vcc, 0, v[10:11]
	v_lshrrev_b32_e32 v6, 23, v1
	s_and_b64 vcc, vcc, s[0:1]
	v_add3_u32 v7, v2, v18, v6
	v_subbrev_co_u32_e32 v2, vcc, 0, v1, vcc
	v_add_u32_e32 v8, -1, v7
	v_and_b32_e32 v2, 0xfffff, v2
	v_add_u32_e32 v10, v2, v1
	v_cmp_ne_u32_e32 vcc, 0, v8
                                        ; implicit-def: $vgpr1_vgpr2
                                        ; implicit-def: $vgpr6
	s_and_saveexec_b64 s[0:1], vcc
	s_xor_b64 s[0:1], exec, s[0:1]
; %bb.92:                               ;   in Loop: Header=BB9_16 Depth=1
	v_and_b32_e32 v18, 0x1000000, v10
	v_mov_b32_e32 v19, v11
	v_bfe_u32 v1, v10, 24, 1
	v_cmp_eq_u64_e32 vcc, 0, v[18:19]
	v_lshrrev_b64 v[1:2], v1, v[10:11]
	v_cndmask_b32_e32 v6, v7, v8, vcc
; %bb.93:                               ;   in Loop: Header=BB9_16 Depth=1
	s_andn2_saveexec_b64 s[0:1], s[0:1]
; %bb.94:                               ;   in Loop: Header=BB9_16 Depth=1
	v_mov_b32_e32 v1, v10
	v_bfe_u32 v6, v10, 23, 1
	v_mov_b32_e32 v2, v11
; %bb.95:                               ;   in Loop: Header=BB9_16 Depth=1
	s_or_b64 exec, exec, s[0:1]
	v_lshrrev_b64 v[1:2], 20, v[1:2]
	v_cmp_gt_i32_e32 vcc, 16, v6
	v_cndmask_b32_e32 v2, 0, v2, vcc
	v_cndmask_b32_e32 v1, 7, v1, vcc
	v_and_b32_sdwa v5, v5, s20 dst_sel:DWORD dst_unused:UNUSED_PAD src0_sel:BYTE_3 src1_sel:DWORD
	v_min_i32_e32 v7, 15, v6
	v_cmp_eq_u64_e64 s[0:1], 0, v[1:2]
	v_cmp_eq_u32_e32 vcc, 0, v6
	v_lshl_or_b32 v2, v7, 3, v5
	v_and_or_b32 v1, v1, 7, v2
	s_and_b64 s[0:1], vcc, s[0:1]
	v_cndmask_b32_e64 v1, v1, 0, s[0:1]
.LBB9_96:                               ;   in Loop: Header=BB9_16 Depth=1
	s_or_b64 exec, exec, s[16:17]
                                        ; implicit-def: $vgpr5
.LBB9_97:                               ;   in Loop: Header=BB9_16 Depth=1
	s_andn2_saveexec_b64 s[0:1], s[10:11]
; %bb.98:                               ;   in Loop: Header=BB9_16 Depth=1
	v_or_b32_sdwa v1, v5, s21 dst_sel:DWORD dst_unused:UNUSED_PAD src0_sel:BYTE_3 src1_sel:DWORD
; %bb.99:                               ;   in Loop: Header=BB9_16 Depth=1
	s_or_b64 exec, exec, s[0:1]
.LBB9_100:                              ;   in Loop: Header=BB9_16 Depth=1
	s_or_b64 exec, exec, s[8:9]
	v_cvt_f32_f16_sdwa v2, v4 dst_sel:DWORD dst_unused:UNUSED_PAD src0_sel:WORD_1
	global_store_byte v[16:17], v1, off offset:6
	v_mul_f32_e32 v2, v25, v2
	v_min_f32_e32 v2, 0x43600000, v2
	v_max_f32_e32 v4, 0xc3600000, v2
	v_and_b32_e32 v10, 0x7f800000, v4
	v_cmp_ne_u64_e32 vcc, s[4:5], v[10:11]
	s_and_saveexec_b64 s[8:9], vcc
	s_cbranch_execz .LBB9_15
; %bb.101:                              ;   in Loop: Header=BB9_16 Depth=1
	v_and_b32_e32 v10, 0x7fffffff, v4
	v_cmp_gt_u64_e32 vcc, s[6:7], v[10:11]
                                        ; implicit-def: $vgpr3
	s_and_saveexec_b64 s[0:1], vcc
	s_xor_b64 s[10:11], exec, s[0:1]
	s_cbranch_execz .LBB9_109
; %bb.102:                              ;   in Loop: Header=BB9_16 Depth=1
	v_cmp_ne_u32_e32 vcc, 0, v4
	v_mov_b32_e32 v3, 0
	s_and_saveexec_b64 s[16:17], vcc
	s_cbranch_execz .LBB9_108
; %bb.103:                              ;   in Loop: Header=BB9_16 Depth=1
	v_bfe_u32 v7, v4, 23, 8
	v_sub_u32_e64 v1, s13, v7 clamp
	v_cmp_eq_u32_e32 vcc, 0, v7
	v_and_b32_e32 v3, 0x7fffff, v4
	v_cndmask_b32_e32 v8, v1, v23, vcc
	v_or_b32_e32 v5, 0x800000, v3
	v_add_u32_e32 v1, 20, v8
	v_lshlrev_b64 v[1:2], v1, -1
	v_cndmask_b32_e32 v10, v5, v3, vcc
	v_add_u32_e32 v3, 19, v8
	v_lshlrev_b64 v[5:6], v3, 1
	v_bfi_b32 v2, v2, 0, 0
	v_bfi_b32 v1, v1, 0, v10
	v_cmp_eq_u64_e64 s[0:1], v[1:2], v[5:6]
	v_lshrrev_b64 v[1:2], v8, v[10:11]
	v_add_u32_e32 v2, 0xffffff89, v7
	v_and_b32_e32 v10, 0x100000, v1
	v_cndmask_b32_e32 v2, v2, v26, vcc
	v_cmp_eq_u64_e32 vcc, 0, v[10:11]
	v_lshrrev_b32_e32 v3, 23, v1
	s_and_b64 vcc, vcc, s[0:1]
	v_add3_u32 v5, v2, v8, v3
	v_subbrev_co_u32_e32 v2, vcc, 0, v1, vcc
	v_add_u32_e32 v6, -1, v5
	v_and_b32_e32 v2, 0xfffff, v2
	v_add_u32_e32 v10, v2, v1
	v_cmp_ne_u32_e32 vcc, 0, v6
                                        ; implicit-def: $vgpr1_vgpr2
                                        ; implicit-def: $vgpr3
	s_and_saveexec_b64 s[0:1], vcc
	s_xor_b64 s[0:1], exec, s[0:1]
; %bb.104:                              ;   in Loop: Header=BB9_16 Depth=1
	v_and_b32_e32 v7, 0x1000000, v10
	v_mov_b32_e32 v8, v11
	v_bfe_u32 v1, v10, 24, 1
	v_cmp_eq_u64_e32 vcc, 0, v[7:8]
	v_lshrrev_b64 v[1:2], v1, v[10:11]
	v_cndmask_b32_e32 v3, v5, v6, vcc
; %bb.105:                              ;   in Loop: Header=BB9_16 Depth=1
	s_andn2_saveexec_b64 s[0:1], s[0:1]
; %bb.106:                              ;   in Loop: Header=BB9_16 Depth=1
	v_mov_b32_e32 v1, v10
	v_bfe_u32 v3, v10, 23, 1
	v_mov_b32_e32 v2, v11
; %bb.107:                              ;   in Loop: Header=BB9_16 Depth=1
	s_or_b64 exec, exec, s[0:1]
	v_lshrrev_b64 v[1:2], 20, v[1:2]
	v_cmp_gt_i32_e32 vcc, 16, v3
	v_cndmask_b32_e32 v2, 0, v2, vcc
	v_cndmask_b32_e32 v1, 7, v1, vcc
	v_and_b32_sdwa v4, v4, s20 dst_sel:DWORD dst_unused:UNUSED_PAD src0_sel:BYTE_3 src1_sel:DWORD
	v_min_i32_e32 v5, 15, v3
	v_cmp_eq_u64_e64 s[0:1], 0, v[1:2]
	v_cmp_eq_u32_e32 vcc, 0, v3
	v_lshl_or_b32 v2, v5, 3, v4
	v_and_or_b32 v1, v1, 7, v2
	s_and_b64 s[0:1], vcc, s[0:1]
	v_cndmask_b32_e64 v3, v1, 0, s[0:1]
.LBB9_108:                              ;   in Loop: Header=BB9_16 Depth=1
	s_or_b64 exec, exec, s[16:17]
                                        ; implicit-def: $vgpr4
.LBB9_109:                              ;   in Loop: Header=BB9_16 Depth=1
	s_andn2_saveexec_b64 s[0:1], s[10:11]
	s_cbranch_execz .LBB9_14
; %bb.110:                              ;   in Loop: Header=BB9_16 Depth=1
	v_or_b32_sdwa v3, v4, s21 dst_sel:DWORD dst_unused:UNUSED_PAD src0_sel:BYTE_3 src1_sel:DWORD
	s_branch .LBB9_14
.LBB9_111:
	s_endpgm
	.section	.rodata,"a",@progbits
	.p2align	6, 0x0
	.amdhsa_kernel _ZN4vllm42fused_add_rms_norm_static_fp8_quant_kernelIN3c104HalfELi8ENS1_15Float8_e4m3fnuzEEENSt9enable_ifIXaagtT0_Li0Esr12_typeConvertIT_EE6existsEvE4typeEPT1_PS5_iSA_PKS5_PKffii
		.amdhsa_group_segment_fixed_size 68
		.amdhsa_private_segment_fixed_size 0
		.amdhsa_kernarg_size 320
		.amdhsa_user_sgpr_count 6
		.amdhsa_user_sgpr_private_segment_buffer 1
		.amdhsa_user_sgpr_dispatch_ptr 0
		.amdhsa_user_sgpr_queue_ptr 0
		.amdhsa_user_sgpr_kernarg_segment_ptr 1
		.amdhsa_user_sgpr_dispatch_id 0
		.amdhsa_user_sgpr_flat_scratch_init 0
		.amdhsa_user_sgpr_private_segment_size 0
		.amdhsa_uses_dynamic_stack 0
		.amdhsa_system_sgpr_private_segment_wavefront_offset 0
		.amdhsa_system_sgpr_workgroup_id_x 1
		.amdhsa_system_sgpr_workgroup_id_y 0
		.amdhsa_system_sgpr_workgroup_id_z 0
		.amdhsa_system_sgpr_workgroup_info 0
		.amdhsa_system_vgpr_workitem_id 0
		.amdhsa_next_free_vgpr 31
		.amdhsa_next_free_sgpr 23
		.amdhsa_reserve_vcc 1
		.amdhsa_reserve_flat_scratch 0
		.amdhsa_float_round_mode_32 0
		.amdhsa_float_round_mode_16_64 0
		.amdhsa_float_denorm_mode_32 3
		.amdhsa_float_denorm_mode_16_64 3
		.amdhsa_dx10_clamp 1
		.amdhsa_ieee_mode 1
		.amdhsa_fp16_overflow 0
		.amdhsa_exception_fp_ieee_invalid_op 0
		.amdhsa_exception_fp_denorm_src 0
		.amdhsa_exception_fp_ieee_div_zero 0
		.amdhsa_exception_fp_ieee_overflow 0
		.amdhsa_exception_fp_ieee_underflow 0
		.amdhsa_exception_fp_ieee_inexact 0
		.amdhsa_exception_int_div_zero 0
	.end_amdhsa_kernel
	.section	.text._ZN4vllm42fused_add_rms_norm_static_fp8_quant_kernelIN3c104HalfELi8ENS1_15Float8_e4m3fnuzEEENSt9enable_ifIXaagtT0_Li0Esr12_typeConvertIT_EE6existsEvE4typeEPT1_PS5_iSA_PKS5_PKffii,"axG",@progbits,_ZN4vllm42fused_add_rms_norm_static_fp8_quant_kernelIN3c104HalfELi8ENS1_15Float8_e4m3fnuzEEENSt9enable_ifIXaagtT0_Li0Esr12_typeConvertIT_EE6existsEvE4typeEPT1_PS5_iSA_PKS5_PKffii,comdat
.Lfunc_end9:
	.size	_ZN4vllm42fused_add_rms_norm_static_fp8_quant_kernelIN3c104HalfELi8ENS1_15Float8_e4m3fnuzEEENSt9enable_ifIXaagtT0_Li0Esr12_typeConvertIT_EE6existsEvE4typeEPT1_PS5_iSA_PKS5_PKffii, .Lfunc_end9-_ZN4vllm42fused_add_rms_norm_static_fp8_quant_kernelIN3c104HalfELi8ENS1_15Float8_e4m3fnuzEEENSt9enable_ifIXaagtT0_Li0Esr12_typeConvertIT_EE6existsEvE4typeEPT1_PS5_iSA_PKS5_PKffii
                                        ; -- End function
	.set _ZN4vllm42fused_add_rms_norm_static_fp8_quant_kernelIN3c104HalfELi8ENS1_15Float8_e4m3fnuzEEENSt9enable_ifIXaagtT0_Li0Esr12_typeConvertIT_EE6existsEvE4typeEPT1_PS5_iSA_PKS5_PKffii.num_vgpr, 31
	.set _ZN4vllm42fused_add_rms_norm_static_fp8_quant_kernelIN3c104HalfELi8ENS1_15Float8_e4m3fnuzEEENSt9enable_ifIXaagtT0_Li0Esr12_typeConvertIT_EE6existsEvE4typeEPT1_PS5_iSA_PKS5_PKffii.num_agpr, 0
	.set _ZN4vllm42fused_add_rms_norm_static_fp8_quant_kernelIN3c104HalfELi8ENS1_15Float8_e4m3fnuzEEENSt9enable_ifIXaagtT0_Li0Esr12_typeConvertIT_EE6existsEvE4typeEPT1_PS5_iSA_PKS5_PKffii.numbered_sgpr, 23
	.set _ZN4vllm42fused_add_rms_norm_static_fp8_quant_kernelIN3c104HalfELi8ENS1_15Float8_e4m3fnuzEEENSt9enable_ifIXaagtT0_Li0Esr12_typeConvertIT_EE6existsEvE4typeEPT1_PS5_iSA_PKS5_PKffii.num_named_barrier, 0
	.set _ZN4vllm42fused_add_rms_norm_static_fp8_quant_kernelIN3c104HalfELi8ENS1_15Float8_e4m3fnuzEEENSt9enable_ifIXaagtT0_Li0Esr12_typeConvertIT_EE6existsEvE4typeEPT1_PS5_iSA_PKS5_PKffii.private_seg_size, 0
	.set _ZN4vllm42fused_add_rms_norm_static_fp8_quant_kernelIN3c104HalfELi8ENS1_15Float8_e4m3fnuzEEENSt9enable_ifIXaagtT0_Li0Esr12_typeConvertIT_EE6existsEvE4typeEPT1_PS5_iSA_PKS5_PKffii.uses_vcc, 1
	.set _ZN4vllm42fused_add_rms_norm_static_fp8_quant_kernelIN3c104HalfELi8ENS1_15Float8_e4m3fnuzEEENSt9enable_ifIXaagtT0_Li0Esr12_typeConvertIT_EE6existsEvE4typeEPT1_PS5_iSA_PKS5_PKffii.uses_flat_scratch, 0
	.set _ZN4vllm42fused_add_rms_norm_static_fp8_quant_kernelIN3c104HalfELi8ENS1_15Float8_e4m3fnuzEEENSt9enable_ifIXaagtT0_Li0Esr12_typeConvertIT_EE6existsEvE4typeEPT1_PS5_iSA_PKS5_PKffii.has_dyn_sized_stack, 0
	.set _ZN4vllm42fused_add_rms_norm_static_fp8_quant_kernelIN3c104HalfELi8ENS1_15Float8_e4m3fnuzEEENSt9enable_ifIXaagtT0_Li0Esr12_typeConvertIT_EE6existsEvE4typeEPT1_PS5_iSA_PKS5_PKffii.has_recursion, 0
	.set _ZN4vllm42fused_add_rms_norm_static_fp8_quant_kernelIN3c104HalfELi8ENS1_15Float8_e4m3fnuzEEENSt9enable_ifIXaagtT0_Li0Esr12_typeConvertIT_EE6existsEvE4typeEPT1_PS5_iSA_PKS5_PKffii.has_indirect_call, 0
	.section	.AMDGPU.csdata,"",@progbits
; Kernel info:
; codeLenInByte = 5040
; TotalNumSgprs: 27
; NumVgprs: 31
; ScratchSize: 0
; MemoryBound: 0
; FloatMode: 240
; IeeeMode: 1
; LDSByteSize: 68 bytes/workgroup (compile time only)
; SGPRBlocks: 3
; VGPRBlocks: 7
; NumSGPRsForWavesPerEU: 27
; NumVGPRsForWavesPerEU: 31
; Occupancy: 8
; WaveLimiterHint : 0
; COMPUTE_PGM_RSRC2:SCRATCH_EN: 0
; COMPUTE_PGM_RSRC2:USER_SGPR: 6
; COMPUTE_PGM_RSRC2:TRAP_HANDLER: 0
; COMPUTE_PGM_RSRC2:TGID_X_EN: 1
; COMPUTE_PGM_RSRC2:TGID_Y_EN: 0
; COMPUTE_PGM_RSRC2:TGID_Z_EN: 0
; COMPUTE_PGM_RSRC2:TIDIG_COMP_CNT: 0
	.section	.text._ZN4vllm42fused_add_rms_norm_static_fp8_quant_kernelIN3c108BFloat16ELi8ENS1_13Float8_e4m3fnEEENSt9enable_ifIXooeqT0_Li0Entsr12_typeConvertIT_EE6existsEvE4typeEPT1_PS5_iSA_PKS5_PKffii,"axG",@progbits,_ZN4vllm42fused_add_rms_norm_static_fp8_quant_kernelIN3c108BFloat16ELi8ENS1_13Float8_e4m3fnEEENSt9enable_ifIXooeqT0_Li0Entsr12_typeConvertIT_EE6existsEvE4typeEPT1_PS5_iSA_PKS5_PKffii,comdat
	.protected	_ZN4vllm42fused_add_rms_norm_static_fp8_quant_kernelIN3c108BFloat16ELi8ENS1_13Float8_e4m3fnEEENSt9enable_ifIXooeqT0_Li0Entsr12_typeConvertIT_EE6existsEvE4typeEPT1_PS5_iSA_PKS5_PKffii ; -- Begin function _ZN4vllm42fused_add_rms_norm_static_fp8_quant_kernelIN3c108BFloat16ELi8ENS1_13Float8_e4m3fnEEENSt9enable_ifIXooeqT0_Li0Entsr12_typeConvertIT_EE6existsEvE4typeEPT1_PS5_iSA_PKS5_PKffii
	.globl	_ZN4vllm42fused_add_rms_norm_static_fp8_quant_kernelIN3c108BFloat16ELi8ENS1_13Float8_e4m3fnEEENSt9enable_ifIXooeqT0_Li0Entsr12_typeConvertIT_EE6existsEvE4typeEPT1_PS5_iSA_PKS5_PKffii
	.p2align	8
	.type	_ZN4vllm42fused_add_rms_norm_static_fp8_quant_kernelIN3c108BFloat16ELi8ENS1_13Float8_e4m3fnEEENSt9enable_ifIXooeqT0_Li0Entsr12_typeConvertIT_EE6existsEvE4typeEPT1_PS5_iSA_PKS5_PKffii,@function
_ZN4vllm42fused_add_rms_norm_static_fp8_quant_kernelIN3c108BFloat16ELi8ENS1_13Float8_e4m3fnEEENSt9enable_ifIXooeqT0_Li0Entsr12_typeConvertIT_EE6existsEvE4typeEPT1_PS5_iSA_PKS5_PKffii: ; @_ZN4vllm42fused_add_rms_norm_static_fp8_quant_kernelIN3c108BFloat16ELi8ENS1_13Float8_e4m3fnEEENSt9enable_ifIXooeqT0_Li0Entsr12_typeConvertIT_EE6existsEvE4typeEPT1_PS5_iSA_PKS5_PKffii
; %bb.0:
	s_load_dword s20, s[4:5], 0x38
	s_load_dwordx2 s[12:13], s[4:5], 0x18
                                        ; implicit-def: $sgpr7
	s_waitcnt lgkmcnt(0)
	v_cmp_gt_i32_e64 s[0:1], s20, v0
	v_cmp_le_i32_e32 vcc, s20, v0
	s_and_saveexec_b64 s[2:3], vcc
	s_xor_b64 s[2:3], exec, s[2:3]
	s_cbranch_execz .LBB10_2
; %bb.1:
	s_load_dword s7, s[4:5], 0x4c
	s_waitcnt lgkmcnt(0)
	s_and_b32 s7, s7, 0xffff
.LBB10_2:
	s_or_saveexec_b64 s[2:3], s[2:3]
	s_load_dwordx2 s[14:15], s[4:5], 0x0
	s_load_dwordx4 s[8:11], s[4:5], 0x20
	v_mov_b32_e32 v3, 0
	v_mov_b32_e32 v1, s6
	;; [unrolled: 1-line block ×3, first 2 shown]
	s_xor_b64 exec, exec, s[2:3]
	s_cbranch_execz .LBB10_6
; %bb.3:
	s_load_dword s22, s[4:5], 0x10
	s_load_dword s7, s[4:5], 0x4c
	s_load_dwordx2 s[16:17], s[4:5], 0x8
	s_mul_i32 s21, s20, s6
	v_mov_b32_e32 v2, 0
	s_waitcnt lgkmcnt(0)
	s_mul_i32 s22, s22, s6
	s_and_b32 s7, s7, 0xffff
	s_mov_b64 s[18:19], 0
	v_mov_b32_e32 v4, s17
	v_mov_b32_e32 v5, s13
	s_movk_i32 s17, 0x7fff
	v_mov_b32_e32 v6, 0x7fc0
	v_mov_b32_e32 v3, 0
	;; [unrolled: 1-line block ×3, first 2 shown]
.LBB10_4:                               ; =>This Inner Loop Header: Depth=1
	v_add_u32_e32 v1, s22, v7
	v_lshlrev_b64 v[8:9], 1, v[1:2]
	v_add_u32_e32 v1, s21, v7
	v_lshlrev_b64 v[10:11], 1, v[1:2]
	v_add_co_u32_e32 v8, vcc, s16, v8
	v_addc_co_u32_e32 v9, vcc, v4, v9, vcc
	v_add_co_u32_e32 v10, vcc, s12, v10
	v_addc_co_u32_e32 v11, vcc, v5, v11, vcc
	global_load_ushort v1, v[8:9], off
	global_load_ushort v12, v[10:11], off
	v_add_u32_e32 v7, s7, v7
	v_cmp_le_i32_e32 vcc, s20, v7
	s_or_b64 s[18:19], vcc, s[18:19]
	s_waitcnt vmcnt(1)
	v_lshlrev_b32_e32 v1, 16, v1
	s_waitcnt vmcnt(0)
	v_lshlrev_b32_e32 v8, 16, v12
	v_add_f32_e32 v1, v1, v8
	v_bfe_u32 v8, v1, 16, 1
	v_cmp_o_f32_e32 vcc, v1, v1
	v_add3_u32 v1, v1, v8, s17
	v_cndmask_b32_sdwa v1, v6, v1, vcc dst_sel:DWORD dst_unused:UNUSED_PAD src0_sel:DWORD src1_sel:WORD_1
	v_lshlrev_b32_e32 v8, 16, v1
	v_fmac_f32_e32 v3, v8, v8
	global_store_short v[10:11], v1, off
	s_andn2_b64 exec, exec, s[18:19]
	s_cbranch_execnz .LBB10_4
; %bb.5:
	s_or_b64 exec, exec, s[18:19]
	v_mov_b32_e32 v1, s6
	v_mov_b32_e32 v6, s7
.LBB10_6:
	s_or_b64 exec, exec, s[2:3]
	v_mbcnt_lo_u32_b32 v2, -1, 0
	v_mbcnt_hi_u32_b32 v2, -1, v2
	v_and_b32_e32 v4, 63, v2
	v_cmp_ne_u32_e32 vcc, 63, v4
	v_addc_co_u32_e32 v5, vcc, 0, v2, vcc
	v_lshlrev_b32_e32 v5, 2, v5
	ds_bpermute_b32 v5, v5, v3
	v_and_b32_e32 v7, 0x3c0, v0
	v_sub_u32_e64 v7, v6, v7 clamp
	v_add_u32_e32 v8, 1, v2
	v_cmp_lt_u32_e32 vcc, v8, v7
	s_waitcnt lgkmcnt(0)
	v_add_f32_e32 v5, v3, v5
	v_cndmask_b32_e32 v3, v3, v5, vcc
	v_cmp_gt_u32_e32 vcc, 62, v4
	v_cndmask_b32_e64 v5, 0, 2, vcc
	v_add_lshl_u32 v5, v5, v2, 2
	ds_bpermute_b32 v5, v5, v3
	v_add_u32_e32 v8, 2, v2
	v_cmp_lt_u32_e32 vcc, v8, v7
	v_add_u32_e32 v8, 4, v2
	s_waitcnt lgkmcnt(0)
	v_add_f32_e32 v5, v3, v5
	v_cndmask_b32_e32 v3, v3, v5, vcc
	v_cmp_gt_u32_e32 vcc, 60, v4
	v_cndmask_b32_e64 v5, 0, 4, vcc
	v_add_lshl_u32 v5, v5, v2, 2
	ds_bpermute_b32 v5, v5, v3
	v_cmp_lt_u32_e32 vcc, v8, v7
	v_add_u32_e32 v8, 8, v2
	s_waitcnt lgkmcnt(0)
	v_add_f32_e32 v5, v3, v5
	v_cndmask_b32_e32 v3, v3, v5, vcc
	v_cmp_gt_u32_e32 vcc, 56, v4
	v_cndmask_b32_e64 v5, 0, 8, vcc
	v_add_lshl_u32 v5, v5, v2, 2
	ds_bpermute_b32 v5, v5, v3
	;; [unrolled: 9-line block ×3, first 2 shown]
	v_add_u32_e32 v5, 16, v2
	v_cmp_lt_u32_e32 vcc, v5, v7
	s_waitcnt lgkmcnt(0)
	v_add_f32_e32 v4, v3, v4
	v_cndmask_b32_e32 v4, v3, v4, vcc
	v_lshlrev_b32_e32 v3, 2, v2
	v_or_b32_e32 v5, 0x80, v3
	ds_bpermute_b32 v5, v5, v4
	v_cmp_lt_u32_e32 vcc, v8, v7
	s_waitcnt lgkmcnt(0)
	v_add_f32_e32 v5, v4, v5
	v_cndmask_b32_e32 v4, v4, v5, vcc
	v_cmp_eq_u32_e32 vcc, 0, v2
	s_and_saveexec_b64 s[2:3], vcc
; %bb.7:
	v_lshrrev_b32_e32 v5, 4, v0
	v_and_b32_e32 v5, 60, v5
	ds_write_b32 v5, v4
; %bb.8:
	s_or_b64 exec, exec, s[2:3]
	v_cmp_gt_u32_e32 vcc, 16, v0
	s_waitcnt vmcnt(0) lgkmcnt(0)
	s_barrier
	s_and_saveexec_b64 s[6:7], vcc
	s_cbranch_execz .LBB10_10
; %bb.9:
	ds_read_b32 v4, v3
	v_and_b32_e32 v5, 15, v2
	v_cmp_ne_u32_e32 vcc, 15, v5
	v_addc_co_u32_e32 v7, vcc, 0, v2, vcc
	v_lshlrev_b32_e32 v7, 2, v7
	s_waitcnt lgkmcnt(0)
	ds_bpermute_b32 v7, v7, v4
	v_add_u32_e32 v8, 63, v6
	v_lshrrev_b32_e32 v8, 6, v8
	v_add_u32_e32 v9, 1, v5
	v_cmp_gt_u32_e64 s[2:3], 14, v5
	s_waitcnt lgkmcnt(0)
	v_add_f32_e32 v7, v4, v7
	v_cmp_lt_u32_e32 vcc, v9, v8
	v_cndmask_b32_e64 v9, 0, 2, s[2:3]
	v_cndmask_b32_e32 v7, v4, v7, vcc
	v_add_lshl_u32 v9, v9, v2, 2
	ds_bpermute_b32 v9, v9, v7
	v_add_u32_e32 v10, 2, v5
	v_cmp_lt_u32_e64 s[2:3], v10, v8
	v_or_b32_e32 v3, 32, v3
	s_waitcnt lgkmcnt(0)
	v_add_f32_e32 v9, v7, v9
	v_cndmask_b32_e64 v7, v7, v9, s[2:3]
	v_cmp_gt_u32_e64 s[2:3], 12, v5
	v_cndmask_b32_e64 v9, 0, 4, s[2:3]
	v_add_lshl_u32 v2, v9, v2, 2
	ds_bpermute_b32 v2, v2, v7
	v_add_u32_e32 v9, 4, v5
	v_cmp_lt_u32_e64 s[2:3], v9, v8
	v_add_u32_e32 v5, 8, v5
	s_waitcnt lgkmcnt(0)
	v_add_f32_e32 v2, v7, v2
	v_cndmask_b32_e64 v2, v7, v2, s[2:3]
	ds_bpermute_b32 v3, v3, v2
	v_cmp_lt_u32_e64 s[2:3], v5, v8
	s_waitcnt lgkmcnt(0)
	v_add_f32_e32 v3, v2, v3
	v_cndmask_b32_e64 v2, v2, v3, s[2:3]
	v_cndmask_b32_e32 v4, v4, v2, vcc
.LBB10_10:
	s_or_b64 exec, exec, s[6:7]
	v_cmp_eq_u32_e32 vcc, 0, v0
	s_and_saveexec_b64 s[2:3], vcc
	s_cbranch_execz .LBB10_12
; %bb.11:
	v_cvt_f32_i32_e32 v2, s20
	s_load_dword s4, s[4:5], 0x30
	s_mov_b32 s5, 0x800000
	v_div_scale_f32 v3, s[6:7], v2, v2, v4
	v_div_scale_f32 v5, vcc, v4, v2, v4
	v_rcp_f32_e32 v7, v3
	v_fma_f32 v8, -v3, v7, 1.0
	v_fmac_f32_e32 v7, v8, v7
	v_mul_f32_e32 v8, v5, v7
	v_fma_f32 v9, -v3, v8, v5
	v_fmac_f32_e32 v8, v9, v7
	v_fma_f32 v3, -v3, v8, v5
	v_div_fmas_f32 v3, v3, v7, v8
	v_div_fixup_f32 v2, v3, v2, v4
	s_waitcnt lgkmcnt(0)
	v_add_f32_e32 v2, s4, v2
	v_mul_f32_e32 v3, 0x4b800000, v2
	v_cmp_gt_f32_e32 vcc, s5, v2
	v_cndmask_b32_e32 v2, v2, v3, vcc
	v_rsq_f32_e32 v2, v2
	v_mul_f32_e32 v3, 0x45800000, v2
	v_cndmask_b32_e32 v2, v2, v3, vcc
	v_mov_b32_e32 v3, 0
	ds_write_b32 v3, v2 offset:64
.LBB10_12:
	s_or_b64 exec, exec, s[2:3]
	s_waitcnt lgkmcnt(0)
	s_barrier
	s_and_saveexec_b64 s[2:3], s[0:1]
	s_cbranch_execz .LBB10_33
; %bb.13:
	s_load_dword s10, s[10:11], 0x0
	v_mul_lo_u32 v7, s20, v1
	s_mov_b64 s[2:3], 0
	v_mov_b32_e32 v8, s13
	s_movk_i32 s13, 0x7fff
	s_waitcnt lgkmcnt(0)
	v_div_scale_f32 v2, s[0:1], s10, s10, 1.0
	v_div_scale_f32 v3, vcc, 1.0, s10, 1.0
	v_mov_b32_e32 v9, s9
	v_mov_b32_e32 v10, 0x7fc00000
	s_mov_b64 s[4:5], 0x7f800000
	s_movk_i32 s9, 0x80
	s_mov_b64 s[6:7], 0x43e00001
	s_movk_i32 s21, 0x79
	s_movk_i32 s22, 0x7f
	v_mov_b32_e32 v12, 0x78
	v_mov_b32_e32 v14, 0xffffff89
	v_rcp_f32_e32 v4, v2
	v_fma_f32 v1, -v2, v4, 1.0
	v_fmac_f32_e32 v4, v1, v4
	v_mul_f32_e32 v1, v3, v4
	v_fma_f32 v5, -v2, v1, v3
	v_fmac_f32_e32 v1, v5, v4
	v_fma_f32 v2, -v2, v1, v3
	v_div_fmas_f32 v1, v2, v4, v1
	v_mov_b32_e32 v3, 0
	ds_read_b32 v11, v3 offset:64
	v_div_fixup_f32 v13, v1, s10, 1.0
	s_branch .LBB10_15
.LBB10_14:                              ;   in Loop: Header=BB10_15 Depth=1
	s_or_b64 exec, exec, s[0:1]
	v_mov_b32_e32 v4, s15
	v_add_co_u32_e32 v1, vcc, s14, v2
	v_addc_co_u32_e32 v2, vcc, 0, v4, vcc
	v_add_u32_e32 v0, v0, v6
	v_cmp_le_i32_e32 vcc, s20, v0
	s_or_b64 s[2:3], vcc, s[2:3]
	global_store_byte v[1:2], v5, off
	s_andn2_b64 exec, exec, s[2:3]
	s_cbranch_execz .LBB10_33
.LBB10_15:                              ; =>This Inner Loop Header: Depth=1
	v_add_u32_e32 v2, v7, v0
	v_lshlrev_b64 v[4:5], 1, v[2:3]
	v_ashrrev_i32_e32 v1, 31, v0
	v_add_co_u32_e32 v4, vcc, s12, v4
	v_addc_co_u32_e32 v5, vcc, v8, v5, vcc
	global_load_ushort v15, v[4:5], off
	v_lshlrev_b64 v[4:5], 1, v[0:1]
	v_mov_b32_e32 v16, v3
	v_add_co_u32_e32 v4, vcc, s8, v4
	v_addc_co_u32_e32 v5, vcc, v9, v5, vcc
	global_load_ushort v1, v[4:5], off
	s_waitcnt vmcnt(1)
	v_lshlrev_b32_e32 v4, 16, v15
	s_waitcnt lgkmcnt(0)
	v_mul_f32_e32 v4, v11, v4
	v_bfe_u32 v5, v4, 16, 1
	v_add3_u32 v5, v4, v5, s13
	v_and_b32_e32 v5, 0xffff0000, v5
	v_cmp_o_f32_e32 vcc, v4, v4
	v_cndmask_b32_e32 v4, v10, v5, vcc
	s_waitcnt vmcnt(0)
	v_lshlrev_b32_e32 v1, 16, v1
	v_mul_f32_e32 v1, v4, v1
	v_bfe_u32 v4, v1, 16, 1
	v_add3_u32 v4, v1, v4, s13
	v_and_b32_e32 v4, 0xffff0000, v4
	v_cmp_o_f32_e32 vcc, v1, v1
	v_cndmask_b32_e32 v1, v10, v4, vcc
	v_mul_f32_e32 v1, v13, v1
	v_min_f32_e32 v1, 0x43e00000, v1
	v_max_f32_e32 v4, 0xc3e00000, v1
	v_and_b32_e32 v15, 0x7f800000, v4
	v_cmp_ne_u64_e32 vcc, s[4:5], v[15:16]
                                        ; implicit-def: $vgpr5
	s_and_saveexec_b64 s[0:1], vcc
	s_xor_b64 s[10:11], exec, s[0:1]
	s_cbranch_execz .LBB10_31
; %bb.16:                               ;   in Loop: Header=BB10_15 Depth=1
	v_and_b32_e32 v15, 0x7fffffff, v4
	v_mov_b32_e32 v16, v3
	v_cmp_gt_u64_e32 vcc, s[6:7], v[15:16]
	v_and_b32_sdwa v1, v4, s9 dst_sel:DWORD dst_unused:UNUSED_PAD src0_sel:BYTE_3 src1_sel:DWORD
                                        ; implicit-def: $vgpr5
	s_and_saveexec_b64 s[0:1], vcc
	s_xor_b64 s[16:17], exec, s[0:1]
	s_cbranch_execz .LBB10_28
; %bb.17:                               ;   in Loop: Header=BB10_15 Depth=1
	v_cmp_ne_u32_e32 vcc, 0, v4
	v_mov_b32_e32 v5, 0
	s_and_saveexec_b64 s[18:19], vcc
	s_cbranch_execz .LBB10_27
; %bb.18:                               ;   in Loop: Header=BB10_15 Depth=1
	v_bfe_u32 v19, v4, 23, 8
	v_and_b32_e32 v5, 0x7fffff, v4
	v_sub_u32_e64 v4, s21, v19 clamp
	v_cmp_eq_u32_e32 vcc, 0, v19
	v_or_b32_e32 v15, 0x800000, v5
	v_cndmask_b32_e32 v20, v4, v12, vcc
	v_cndmask_b32_e32 v4, v15, v5, vcc
	v_add_u32_e32 v5, 20, v20
	v_lshlrev_b64 v[15:16], v5, -1
	v_mov_b32_e32 v5, v3
	v_add_u32_e32 v17, 19, v20
	v_lshlrev_b64 v[17:18], v17, 1
	v_bfi_b32 v15, v15, 0, v4
	v_lshrrev_b64 v[4:5], v20, v[4:5]
	v_bfi_b32 v16, v16, 0, 0
	v_cmp_eq_u64_e64 s[0:1], v[15:16], v[17:18]
	v_add_u32_e32 v5, 0xffffff88, v19
	v_and_b32_e32 v17, 0x100000, v4
	v_mov_b32_e32 v18, v3
	v_cndmask_b32_e32 v5, v5, v14, vcc
	v_cmp_eq_u64_e32 vcc, 0, v[17:18]
	v_lshrrev_b32_e32 v15, 23, v4
	s_and_b64 vcc, vcc, s[0:1]
	v_add3_u32 v16, v5, v20, v15
	v_subbrev_co_u32_e32 v5, vcc, 0, v4, vcc
	v_add_u32_e32 v17, -1, v16
	v_and_b32_e32 v5, 0xfffff, v5
	v_add_u32_e32 v4, v5, v4
	v_mov_b32_e32 v5, v3
	v_cmp_ne_u32_e32 vcc, 0, v17
                                        ; implicit-def: $vgpr15
	s_and_saveexec_b64 s[0:1], vcc
	s_xor_b64 s[0:1], exec, s[0:1]
; %bb.19:                               ;   in Loop: Header=BB10_15 Depth=1
	v_and_b32_e32 v18, 0x1000000, v4
	v_mov_b32_e32 v19, v3
	v_cmp_eq_u64_e32 vcc, 0, v[18:19]
	v_bfe_u32 v15, v4, 24, 1
	v_lshrrev_b64 v[4:5], v15, v[4:5]
	v_cndmask_b32_e32 v15, v16, v17, vcc
; %bb.20:                               ;   in Loop: Header=BB10_15 Depth=1
	s_andn2_saveexec_b64 s[0:1], s[0:1]
; %bb.21:                               ;   in Loop: Header=BB10_15 Depth=1
	v_bfe_u32 v15, v4, 23, 1
; %bb.22:                               ;   in Loop: Header=BB10_15 Depth=1
	s_or_b64 exec, exec, s[0:1]
	v_lshrrev_b64 v[4:5], 20, v[4:5]
	v_cmp_gt_i32_e32 vcc, 16, v15
	v_cndmask_b32_e32 v5, 0, v5, vcc
	v_cndmask_b32_e32 v4, 7, v4, vcc
	v_cmp_ne_u64_e32 vcc, 0, v[4:5]
	v_cmp_ne_u32_e64 s[0:1], 0, v15
	s_or_b64 s[0:1], s[0:1], vcc
                                        ; implicit-def: $vgpr5
	s_and_saveexec_b64 s[24:25], s[0:1]
	s_xor_b64 s[0:1], exec, s[24:25]
; %bb.23:                               ;   in Loop: Header=BB10_15 Depth=1
	v_min_i32_e32 v5, 15, v15
	v_lshl_or_b32 v1, v5, 3, v1
	v_and_or_b32 v5, v4, 7, v1
                                        ; implicit-def: $vgpr1
; %bb.24:                               ;   in Loop: Header=BB10_15 Depth=1
	s_andn2_saveexec_b64 s[0:1], s[0:1]
; %bb.25:                               ;   in Loop: Header=BB10_15 Depth=1
	v_mov_b32_e32 v5, v1
; %bb.26:                               ;   in Loop: Header=BB10_15 Depth=1
	s_or_b64 exec, exec, s[0:1]
.LBB10_27:                              ;   in Loop: Header=BB10_15 Depth=1
	s_or_b64 exec, exec, s[18:19]
                                        ; implicit-def: $vgpr1
.LBB10_28:                              ;   in Loop: Header=BB10_15 Depth=1
	s_andn2_saveexec_b64 s[0:1], s[16:17]
; %bb.29:                               ;   in Loop: Header=BB10_15 Depth=1
	v_or_b32_e32 v5, 0x7e, v1
; %bb.30:                               ;   in Loop: Header=BB10_15 Depth=1
	s_or_b64 exec, exec, s[0:1]
                                        ; implicit-def: $vgpr4
.LBB10_31:                              ;   in Loop: Header=BB10_15 Depth=1
	s_andn2_saveexec_b64 s[0:1], s[10:11]
	s_cbranch_execz .LBB10_14
; %bb.32:                               ;   in Loop: Header=BB10_15 Depth=1
	v_or_b32_sdwa v5, v4, s22 dst_sel:DWORD dst_unused:UNUSED_PAD src0_sel:BYTE_3 src1_sel:DWORD
	s_branch .LBB10_14
.LBB10_33:
	s_endpgm
	.section	.rodata,"a",@progbits
	.p2align	6, 0x0
	.amdhsa_kernel _ZN4vllm42fused_add_rms_norm_static_fp8_quant_kernelIN3c108BFloat16ELi8ENS1_13Float8_e4m3fnEEENSt9enable_ifIXooeqT0_Li0Entsr12_typeConvertIT_EE6existsEvE4typeEPT1_PS5_iSA_PKS5_PKffii
		.amdhsa_group_segment_fixed_size 68
		.amdhsa_private_segment_fixed_size 0
		.amdhsa_kernarg_size 320
		.amdhsa_user_sgpr_count 6
		.amdhsa_user_sgpr_private_segment_buffer 1
		.amdhsa_user_sgpr_dispatch_ptr 0
		.amdhsa_user_sgpr_queue_ptr 0
		.amdhsa_user_sgpr_kernarg_segment_ptr 1
		.amdhsa_user_sgpr_dispatch_id 0
		.amdhsa_user_sgpr_flat_scratch_init 0
		.amdhsa_user_sgpr_private_segment_size 0
		.amdhsa_uses_dynamic_stack 0
		.amdhsa_system_sgpr_private_segment_wavefront_offset 0
		.amdhsa_system_sgpr_workgroup_id_x 1
		.amdhsa_system_sgpr_workgroup_id_y 0
		.amdhsa_system_sgpr_workgroup_id_z 0
		.amdhsa_system_sgpr_workgroup_info 0
		.amdhsa_system_vgpr_workitem_id 0
		.amdhsa_next_free_vgpr 21
		.amdhsa_next_free_sgpr 26
		.amdhsa_reserve_vcc 1
		.amdhsa_reserve_flat_scratch 0
		.amdhsa_float_round_mode_32 0
		.amdhsa_float_round_mode_16_64 0
		.amdhsa_float_denorm_mode_32 3
		.amdhsa_float_denorm_mode_16_64 3
		.amdhsa_dx10_clamp 1
		.amdhsa_ieee_mode 1
		.amdhsa_fp16_overflow 0
		.amdhsa_exception_fp_ieee_invalid_op 0
		.amdhsa_exception_fp_denorm_src 0
		.amdhsa_exception_fp_ieee_div_zero 0
		.amdhsa_exception_fp_ieee_overflow 0
		.amdhsa_exception_fp_ieee_underflow 0
		.amdhsa_exception_fp_ieee_inexact 0
		.amdhsa_exception_int_div_zero 0
	.end_amdhsa_kernel
	.section	.text._ZN4vllm42fused_add_rms_norm_static_fp8_quant_kernelIN3c108BFloat16ELi8ENS1_13Float8_e4m3fnEEENSt9enable_ifIXooeqT0_Li0Entsr12_typeConvertIT_EE6existsEvE4typeEPT1_PS5_iSA_PKS5_PKffii,"axG",@progbits,_ZN4vllm42fused_add_rms_norm_static_fp8_quant_kernelIN3c108BFloat16ELi8ENS1_13Float8_e4m3fnEEENSt9enable_ifIXooeqT0_Li0Entsr12_typeConvertIT_EE6existsEvE4typeEPT1_PS5_iSA_PKS5_PKffii,comdat
.Lfunc_end10:
	.size	_ZN4vllm42fused_add_rms_norm_static_fp8_quant_kernelIN3c108BFloat16ELi8ENS1_13Float8_e4m3fnEEENSt9enable_ifIXooeqT0_Li0Entsr12_typeConvertIT_EE6existsEvE4typeEPT1_PS5_iSA_PKS5_PKffii, .Lfunc_end10-_ZN4vllm42fused_add_rms_norm_static_fp8_quant_kernelIN3c108BFloat16ELi8ENS1_13Float8_e4m3fnEEENSt9enable_ifIXooeqT0_Li0Entsr12_typeConvertIT_EE6existsEvE4typeEPT1_PS5_iSA_PKS5_PKffii
                                        ; -- End function
	.set _ZN4vllm42fused_add_rms_norm_static_fp8_quant_kernelIN3c108BFloat16ELi8ENS1_13Float8_e4m3fnEEENSt9enable_ifIXooeqT0_Li0Entsr12_typeConvertIT_EE6existsEvE4typeEPT1_PS5_iSA_PKS5_PKffii.num_vgpr, 21
	.set _ZN4vllm42fused_add_rms_norm_static_fp8_quant_kernelIN3c108BFloat16ELi8ENS1_13Float8_e4m3fnEEENSt9enable_ifIXooeqT0_Li0Entsr12_typeConvertIT_EE6existsEvE4typeEPT1_PS5_iSA_PKS5_PKffii.num_agpr, 0
	.set _ZN4vllm42fused_add_rms_norm_static_fp8_quant_kernelIN3c108BFloat16ELi8ENS1_13Float8_e4m3fnEEENSt9enable_ifIXooeqT0_Li0Entsr12_typeConvertIT_EE6existsEvE4typeEPT1_PS5_iSA_PKS5_PKffii.numbered_sgpr, 26
	.set _ZN4vllm42fused_add_rms_norm_static_fp8_quant_kernelIN3c108BFloat16ELi8ENS1_13Float8_e4m3fnEEENSt9enable_ifIXooeqT0_Li0Entsr12_typeConvertIT_EE6existsEvE4typeEPT1_PS5_iSA_PKS5_PKffii.num_named_barrier, 0
	.set _ZN4vllm42fused_add_rms_norm_static_fp8_quant_kernelIN3c108BFloat16ELi8ENS1_13Float8_e4m3fnEEENSt9enable_ifIXooeqT0_Li0Entsr12_typeConvertIT_EE6existsEvE4typeEPT1_PS5_iSA_PKS5_PKffii.private_seg_size, 0
	.set _ZN4vllm42fused_add_rms_norm_static_fp8_quant_kernelIN3c108BFloat16ELi8ENS1_13Float8_e4m3fnEEENSt9enable_ifIXooeqT0_Li0Entsr12_typeConvertIT_EE6existsEvE4typeEPT1_PS5_iSA_PKS5_PKffii.uses_vcc, 1
	.set _ZN4vllm42fused_add_rms_norm_static_fp8_quant_kernelIN3c108BFloat16ELi8ENS1_13Float8_e4m3fnEEENSt9enable_ifIXooeqT0_Li0Entsr12_typeConvertIT_EE6existsEvE4typeEPT1_PS5_iSA_PKS5_PKffii.uses_flat_scratch, 0
	.set _ZN4vllm42fused_add_rms_norm_static_fp8_quant_kernelIN3c108BFloat16ELi8ENS1_13Float8_e4m3fnEEENSt9enable_ifIXooeqT0_Li0Entsr12_typeConvertIT_EE6existsEvE4typeEPT1_PS5_iSA_PKS5_PKffii.has_dyn_sized_stack, 0
	.set _ZN4vllm42fused_add_rms_norm_static_fp8_quant_kernelIN3c108BFloat16ELi8ENS1_13Float8_e4m3fnEEENSt9enable_ifIXooeqT0_Li0Entsr12_typeConvertIT_EE6existsEvE4typeEPT1_PS5_iSA_PKS5_PKffii.has_recursion, 0
	.set _ZN4vllm42fused_add_rms_norm_static_fp8_quant_kernelIN3c108BFloat16ELi8ENS1_13Float8_e4m3fnEEENSt9enable_ifIXooeqT0_Li0Entsr12_typeConvertIT_EE6existsEvE4typeEPT1_PS5_iSA_PKS5_PKffii.has_indirect_call, 0
	.section	.AMDGPU.csdata,"",@progbits
; Kernel info:
; codeLenInByte = 1928
; TotalNumSgprs: 30
; NumVgprs: 21
; ScratchSize: 0
; MemoryBound: 0
; FloatMode: 240
; IeeeMode: 1
; LDSByteSize: 68 bytes/workgroup (compile time only)
; SGPRBlocks: 3
; VGPRBlocks: 5
; NumSGPRsForWavesPerEU: 30
; NumVGPRsForWavesPerEU: 21
; Occupancy: 10
; WaveLimiterHint : 0
; COMPUTE_PGM_RSRC2:SCRATCH_EN: 0
; COMPUTE_PGM_RSRC2:USER_SGPR: 6
; COMPUTE_PGM_RSRC2:TRAP_HANDLER: 0
; COMPUTE_PGM_RSRC2:TGID_X_EN: 1
; COMPUTE_PGM_RSRC2:TGID_Y_EN: 0
; COMPUTE_PGM_RSRC2:TGID_Z_EN: 0
; COMPUTE_PGM_RSRC2:TIDIG_COMP_CNT: 0
	.section	.text._ZN4vllm42fused_add_rms_norm_static_fp8_quant_kernelIN3c108BFloat16ELi8ENS1_15Float8_e4m3fnuzEEENSt9enable_ifIXooeqT0_Li0Entsr12_typeConvertIT_EE6existsEvE4typeEPT1_PS5_iSA_PKS5_PKffii,"axG",@progbits,_ZN4vllm42fused_add_rms_norm_static_fp8_quant_kernelIN3c108BFloat16ELi8ENS1_15Float8_e4m3fnuzEEENSt9enable_ifIXooeqT0_Li0Entsr12_typeConvertIT_EE6existsEvE4typeEPT1_PS5_iSA_PKS5_PKffii,comdat
	.protected	_ZN4vllm42fused_add_rms_norm_static_fp8_quant_kernelIN3c108BFloat16ELi8ENS1_15Float8_e4m3fnuzEEENSt9enable_ifIXooeqT0_Li0Entsr12_typeConvertIT_EE6existsEvE4typeEPT1_PS5_iSA_PKS5_PKffii ; -- Begin function _ZN4vllm42fused_add_rms_norm_static_fp8_quant_kernelIN3c108BFloat16ELi8ENS1_15Float8_e4m3fnuzEEENSt9enable_ifIXooeqT0_Li0Entsr12_typeConvertIT_EE6existsEvE4typeEPT1_PS5_iSA_PKS5_PKffii
	.globl	_ZN4vllm42fused_add_rms_norm_static_fp8_quant_kernelIN3c108BFloat16ELi8ENS1_15Float8_e4m3fnuzEEENSt9enable_ifIXooeqT0_Li0Entsr12_typeConvertIT_EE6existsEvE4typeEPT1_PS5_iSA_PKS5_PKffii
	.p2align	8
	.type	_ZN4vllm42fused_add_rms_norm_static_fp8_quant_kernelIN3c108BFloat16ELi8ENS1_15Float8_e4m3fnuzEEENSt9enable_ifIXooeqT0_Li0Entsr12_typeConvertIT_EE6existsEvE4typeEPT1_PS5_iSA_PKS5_PKffii,@function
_ZN4vllm42fused_add_rms_norm_static_fp8_quant_kernelIN3c108BFloat16ELi8ENS1_15Float8_e4m3fnuzEEENSt9enable_ifIXooeqT0_Li0Entsr12_typeConvertIT_EE6existsEvE4typeEPT1_PS5_iSA_PKS5_PKffii: ; @_ZN4vllm42fused_add_rms_norm_static_fp8_quant_kernelIN3c108BFloat16ELi8ENS1_15Float8_e4m3fnuzEEENSt9enable_ifIXooeqT0_Li0Entsr12_typeConvertIT_EE6existsEvE4typeEPT1_PS5_iSA_PKS5_PKffii
; %bb.0:
	s_load_dword s20, s[4:5], 0x38
	s_load_dwordx2 s[12:13], s[4:5], 0x18
                                        ; implicit-def: $sgpr7
	s_waitcnt lgkmcnt(0)
	v_cmp_gt_i32_e64 s[0:1], s20, v0
	v_cmp_le_i32_e32 vcc, s20, v0
	s_and_saveexec_b64 s[2:3], vcc
	s_xor_b64 s[2:3], exec, s[2:3]
	s_cbranch_execz .LBB11_2
; %bb.1:
	s_load_dword s7, s[4:5], 0x4c
	s_waitcnt lgkmcnt(0)
	s_and_b32 s7, s7, 0xffff
.LBB11_2:
	s_or_saveexec_b64 s[2:3], s[2:3]
	s_load_dwordx2 s[14:15], s[4:5], 0x0
	s_load_dwordx4 s[8:11], s[4:5], 0x20
	v_mov_b32_e32 v3, 0
	v_mov_b32_e32 v1, s6
	;; [unrolled: 1-line block ×3, first 2 shown]
	s_xor_b64 exec, exec, s[2:3]
	s_cbranch_execz .LBB11_6
; %bb.3:
	s_load_dword s22, s[4:5], 0x10
	s_load_dword s7, s[4:5], 0x4c
	s_load_dwordx2 s[16:17], s[4:5], 0x8
	s_mul_i32 s21, s20, s6
	v_mov_b32_e32 v2, 0
	s_waitcnt lgkmcnt(0)
	s_mul_i32 s22, s22, s6
	s_and_b32 s7, s7, 0xffff
	s_mov_b64 s[18:19], 0
	v_mov_b32_e32 v4, s17
	v_mov_b32_e32 v5, s13
	s_movk_i32 s17, 0x7fff
	v_mov_b32_e32 v6, 0x7fc0
	v_mov_b32_e32 v3, 0
	;; [unrolled: 1-line block ×3, first 2 shown]
.LBB11_4:                               ; =>This Inner Loop Header: Depth=1
	v_add_u32_e32 v1, s22, v7
	v_lshlrev_b64 v[8:9], 1, v[1:2]
	v_add_u32_e32 v1, s21, v7
	v_lshlrev_b64 v[10:11], 1, v[1:2]
	v_add_co_u32_e32 v8, vcc, s16, v8
	v_addc_co_u32_e32 v9, vcc, v4, v9, vcc
	v_add_co_u32_e32 v10, vcc, s12, v10
	v_addc_co_u32_e32 v11, vcc, v5, v11, vcc
	global_load_ushort v1, v[8:9], off
	global_load_ushort v12, v[10:11], off
	v_add_u32_e32 v7, s7, v7
	v_cmp_le_i32_e32 vcc, s20, v7
	s_or_b64 s[18:19], vcc, s[18:19]
	s_waitcnt vmcnt(1)
	v_lshlrev_b32_e32 v1, 16, v1
	s_waitcnt vmcnt(0)
	v_lshlrev_b32_e32 v8, 16, v12
	v_add_f32_e32 v1, v1, v8
	v_bfe_u32 v8, v1, 16, 1
	v_cmp_o_f32_e32 vcc, v1, v1
	v_add3_u32 v1, v1, v8, s17
	v_cndmask_b32_sdwa v1, v6, v1, vcc dst_sel:DWORD dst_unused:UNUSED_PAD src0_sel:DWORD src1_sel:WORD_1
	v_lshlrev_b32_e32 v8, 16, v1
	v_fmac_f32_e32 v3, v8, v8
	global_store_short v[10:11], v1, off
	s_andn2_b64 exec, exec, s[18:19]
	s_cbranch_execnz .LBB11_4
; %bb.5:
	s_or_b64 exec, exec, s[18:19]
	v_mov_b32_e32 v1, s6
	v_mov_b32_e32 v6, s7
.LBB11_6:
	s_or_b64 exec, exec, s[2:3]
	v_mbcnt_lo_u32_b32 v2, -1, 0
	v_mbcnt_hi_u32_b32 v2, -1, v2
	v_and_b32_e32 v4, 63, v2
	v_cmp_ne_u32_e32 vcc, 63, v4
	v_addc_co_u32_e32 v5, vcc, 0, v2, vcc
	v_lshlrev_b32_e32 v5, 2, v5
	ds_bpermute_b32 v5, v5, v3
	v_and_b32_e32 v7, 0x3c0, v0
	v_sub_u32_e64 v7, v6, v7 clamp
	v_add_u32_e32 v8, 1, v2
	v_cmp_lt_u32_e32 vcc, v8, v7
	s_waitcnt lgkmcnt(0)
	v_add_f32_e32 v5, v3, v5
	v_cndmask_b32_e32 v3, v3, v5, vcc
	v_cmp_gt_u32_e32 vcc, 62, v4
	v_cndmask_b32_e64 v5, 0, 2, vcc
	v_add_lshl_u32 v5, v5, v2, 2
	ds_bpermute_b32 v5, v5, v3
	v_add_u32_e32 v8, 2, v2
	v_cmp_lt_u32_e32 vcc, v8, v7
	v_add_u32_e32 v8, 4, v2
	s_waitcnt lgkmcnt(0)
	v_add_f32_e32 v5, v3, v5
	v_cndmask_b32_e32 v3, v3, v5, vcc
	v_cmp_gt_u32_e32 vcc, 60, v4
	v_cndmask_b32_e64 v5, 0, 4, vcc
	v_add_lshl_u32 v5, v5, v2, 2
	ds_bpermute_b32 v5, v5, v3
	v_cmp_lt_u32_e32 vcc, v8, v7
	v_add_u32_e32 v8, 8, v2
	s_waitcnt lgkmcnt(0)
	v_add_f32_e32 v5, v3, v5
	v_cndmask_b32_e32 v3, v3, v5, vcc
	v_cmp_gt_u32_e32 vcc, 56, v4
	v_cndmask_b32_e64 v5, 0, 8, vcc
	v_add_lshl_u32 v5, v5, v2, 2
	ds_bpermute_b32 v5, v5, v3
	;; [unrolled: 9-line block ×3, first 2 shown]
	v_add_u32_e32 v5, 16, v2
	v_cmp_lt_u32_e32 vcc, v5, v7
	s_waitcnt lgkmcnt(0)
	v_add_f32_e32 v4, v3, v4
	v_cndmask_b32_e32 v4, v3, v4, vcc
	v_lshlrev_b32_e32 v3, 2, v2
	v_or_b32_e32 v5, 0x80, v3
	ds_bpermute_b32 v5, v5, v4
	v_cmp_lt_u32_e32 vcc, v8, v7
	s_waitcnt lgkmcnt(0)
	v_add_f32_e32 v5, v4, v5
	v_cndmask_b32_e32 v4, v4, v5, vcc
	v_cmp_eq_u32_e32 vcc, 0, v2
	s_and_saveexec_b64 s[2:3], vcc
; %bb.7:
	v_lshrrev_b32_e32 v5, 4, v0
	v_and_b32_e32 v5, 60, v5
	ds_write_b32 v5, v4
; %bb.8:
	s_or_b64 exec, exec, s[2:3]
	v_cmp_gt_u32_e32 vcc, 16, v0
	s_waitcnt vmcnt(0) lgkmcnt(0)
	s_barrier
	s_and_saveexec_b64 s[6:7], vcc
	s_cbranch_execz .LBB11_10
; %bb.9:
	ds_read_b32 v4, v3
	v_and_b32_e32 v5, 15, v2
	v_cmp_ne_u32_e32 vcc, 15, v5
	v_addc_co_u32_e32 v7, vcc, 0, v2, vcc
	v_lshlrev_b32_e32 v7, 2, v7
	s_waitcnt lgkmcnt(0)
	ds_bpermute_b32 v7, v7, v4
	v_add_u32_e32 v8, 63, v6
	v_lshrrev_b32_e32 v8, 6, v8
	v_add_u32_e32 v9, 1, v5
	v_cmp_gt_u32_e64 s[2:3], 14, v5
	s_waitcnt lgkmcnt(0)
	v_add_f32_e32 v7, v4, v7
	v_cmp_lt_u32_e32 vcc, v9, v8
	v_cndmask_b32_e64 v9, 0, 2, s[2:3]
	v_cndmask_b32_e32 v7, v4, v7, vcc
	v_add_lshl_u32 v9, v9, v2, 2
	ds_bpermute_b32 v9, v9, v7
	v_add_u32_e32 v10, 2, v5
	v_cmp_lt_u32_e64 s[2:3], v10, v8
	v_or_b32_e32 v3, 32, v3
	s_waitcnt lgkmcnt(0)
	v_add_f32_e32 v9, v7, v9
	v_cndmask_b32_e64 v7, v7, v9, s[2:3]
	v_cmp_gt_u32_e64 s[2:3], 12, v5
	v_cndmask_b32_e64 v9, 0, 4, s[2:3]
	v_add_lshl_u32 v2, v9, v2, 2
	ds_bpermute_b32 v2, v2, v7
	v_add_u32_e32 v9, 4, v5
	v_cmp_lt_u32_e64 s[2:3], v9, v8
	v_add_u32_e32 v5, 8, v5
	s_waitcnt lgkmcnt(0)
	v_add_f32_e32 v2, v7, v2
	v_cndmask_b32_e64 v2, v7, v2, s[2:3]
	ds_bpermute_b32 v3, v3, v2
	v_cmp_lt_u32_e64 s[2:3], v5, v8
	s_waitcnt lgkmcnt(0)
	v_add_f32_e32 v3, v2, v3
	v_cndmask_b32_e64 v2, v2, v3, s[2:3]
	v_cndmask_b32_e32 v4, v4, v2, vcc
.LBB11_10:
	s_or_b64 exec, exec, s[6:7]
	v_cmp_eq_u32_e32 vcc, 0, v0
	s_and_saveexec_b64 s[2:3], vcc
	s_cbranch_execz .LBB11_12
; %bb.11:
	v_cvt_f32_i32_e32 v2, s20
	s_load_dword s4, s[4:5], 0x30
	s_mov_b32 s5, 0x800000
	v_div_scale_f32 v3, s[6:7], v2, v2, v4
	v_div_scale_f32 v5, vcc, v4, v2, v4
	v_rcp_f32_e32 v7, v3
	v_fma_f32 v8, -v3, v7, 1.0
	v_fmac_f32_e32 v7, v8, v7
	v_mul_f32_e32 v8, v5, v7
	v_fma_f32 v9, -v3, v8, v5
	v_fmac_f32_e32 v8, v9, v7
	v_fma_f32 v3, -v3, v8, v5
	v_div_fmas_f32 v3, v3, v7, v8
	v_div_fixup_f32 v2, v3, v2, v4
	s_waitcnt lgkmcnt(0)
	v_add_f32_e32 v2, s4, v2
	v_mul_f32_e32 v3, 0x4b800000, v2
	v_cmp_gt_f32_e32 vcc, s5, v2
	v_cndmask_b32_e32 v2, v2, v3, vcc
	v_rsq_f32_e32 v2, v2
	v_mul_f32_e32 v3, 0x45800000, v2
	v_cndmask_b32_e32 v2, v2, v3, vcc
	v_mov_b32_e32 v3, 0
	ds_write_b32 v3, v2 offset:64
.LBB11_12:
	s_or_b64 exec, exec, s[2:3]
	s_waitcnt lgkmcnt(0)
	s_barrier
	s_and_saveexec_b64 s[2:3], s[0:1]
	s_cbranch_execz .LBB11_27
; %bb.13:
	s_load_dword s10, s[10:11], 0x0
	v_mul_lo_u32 v7, s20, v1
	s_mov_b64 s[2:3], 0
	v_mov_b32_e32 v8, s13
	s_movk_i32 s13, 0x7fff
	s_waitcnt lgkmcnt(0)
	v_div_scale_f32 v2, s[0:1], s10, s10, 1.0
	v_div_scale_f32 v3, vcc, 1.0, s10, 1.0
	v_mov_b32_e32 v9, s9
	v_mov_b32_e32 v10, 0x7fc00000
	s_mov_b64 s[4:5], 0x7f800000
	s_mov_b64 s[6:7], 0x43700001
	s_movk_i32 s9, 0x78
	s_movk_i32 s21, 0x80
	s_movk_i32 s22, 0x7f
	v_mov_b32_e32 v12, 0x77
	v_mov_b32_e32 v14, 0xffffff8a
	v_rcp_f32_e32 v4, v2
	v_fma_f32 v1, -v2, v4, 1.0
	v_fmac_f32_e32 v4, v1, v4
	v_mul_f32_e32 v1, v3, v4
	v_fma_f32 v5, -v2, v1, v3
	v_fmac_f32_e32 v1, v5, v4
	v_fma_f32 v2, -v2, v1, v3
	v_div_fmas_f32 v1, v2, v4, v1
	v_mov_b32_e32 v3, 0
	ds_read_b32 v11, v3 offset:64
	v_div_fixup_f32 v13, v1, s10, 1.0
	s_branch .LBB11_16
.LBB11_14:                              ;   in Loop: Header=BB11_16 Depth=1
	s_or_b64 exec, exec, s[0:1]
.LBB11_15:                              ;   in Loop: Header=BB11_16 Depth=1
	s_or_b64 exec, exec, s[10:11]
	v_mov_b32_e32 v5, s15
	v_add_co_u32_e32 v1, vcc, s14, v2
	v_addc_co_u32_e32 v2, vcc, 0, v5, vcc
	v_add_u32_e32 v0, v0, v6
	v_cmp_le_i32_e32 vcc, s20, v0
	s_or_b64 s[2:3], vcc, s[2:3]
	global_store_byte v[1:2], v4, off
	s_andn2_b64 exec, exec, s[2:3]
	s_cbranch_execz .LBB11_27
.LBB11_16:                              ; =>This Inner Loop Header: Depth=1
	v_add_u32_e32 v2, v7, v0
	v_lshlrev_b64 v[4:5], 1, v[2:3]
	v_ashrrev_i32_e32 v1, 31, v0
	v_add_co_u32_e32 v4, vcc, s12, v4
	v_addc_co_u32_e32 v5, vcc, v8, v5, vcc
	global_load_ushort v15, v[4:5], off
	v_lshlrev_b64 v[4:5], 1, v[0:1]
	v_add_co_u32_e32 v4, vcc, s8, v4
	v_addc_co_u32_e32 v5, vcc, v9, v5, vcc
	global_load_ushort v1, v[4:5], off
	s_waitcnt vmcnt(1)
	v_lshlrev_b32_e32 v4, 16, v15
	s_waitcnt lgkmcnt(0)
	v_mul_f32_e32 v4, v11, v4
	v_bfe_u32 v5, v4, 16, 1
	v_add3_u32 v5, v4, v5, s13
	v_and_b32_e32 v5, 0xffff0000, v5
	v_cmp_o_f32_e32 vcc, v4, v4
	v_cndmask_b32_e32 v4, v10, v5, vcc
	s_waitcnt vmcnt(0)
	v_lshlrev_b32_e32 v1, 16, v1
	v_mul_f32_e32 v1, v4, v1
	v_bfe_u32 v4, v1, 16, 1
	v_add3_u32 v4, v1, v4, s13
	v_and_b32_e32 v4, 0xffff0000, v4
	v_cmp_o_f32_e32 vcc, v1, v1
	v_cndmask_b32_e32 v1, v10, v4, vcc
	v_mul_f32_e32 v1, v13, v1
	v_min_f32_e32 v1, 0x43600000, v1
	v_max_f32_e32 v1, 0xc3600000, v1
	v_and_b32_e32 v4, 0x7f800000, v1
	v_mov_b32_e32 v5, v3
	v_cmp_ne_u64_e32 vcc, s[4:5], v[4:5]
	v_mov_b32_e32 v4, 0x80
	s_and_saveexec_b64 s[10:11], vcc
	s_cbranch_execz .LBB11_15
; %bb.17:                               ;   in Loop: Header=BB11_16 Depth=1
	v_and_b32_e32 v4, 0x7fffffff, v1
	v_mov_b32_e32 v5, v3
	v_cmp_gt_u64_e32 vcc, s[6:7], v[4:5]
                                        ; implicit-def: $vgpr4
	s_and_saveexec_b64 s[0:1], vcc
	s_xor_b64 s[16:17], exec, s[0:1]
	s_cbranch_execz .LBB11_25
; %bb.18:                               ;   in Loop: Header=BB11_16 Depth=1
	v_cmp_ne_u32_e32 vcc, 0, v1
	v_mov_b32_e32 v4, 0
	s_and_saveexec_b64 s[18:19], vcc
	s_cbranch_execz .LBB11_24
; %bb.19:                               ;   in Loop: Header=BB11_16 Depth=1
	v_bfe_u32 v19, v1, 23, 8
	v_sub_u32_e64 v5, s9, v19 clamp
	v_cmp_eq_u32_e32 vcc, 0, v19
	v_and_b32_e32 v4, 0x7fffff, v1
	v_cndmask_b32_e32 v20, v5, v12, vcc
	v_or_b32_e32 v15, 0x800000, v4
	v_add_u32_e32 v5, 20, v20
	v_cndmask_b32_e32 v4, v15, v4, vcc
	v_lshlrev_b64 v[15:16], v5, -1
	v_mov_b32_e32 v5, v3
	v_add_u32_e32 v17, 19, v20
	v_lshlrev_b64 v[17:18], v17, 1
	v_bfi_b32 v15, v15, 0, v4
	v_lshrrev_b64 v[4:5], v20, v[4:5]
	v_bfi_b32 v16, v16, 0, 0
	v_cmp_eq_u64_e64 s[0:1], v[15:16], v[17:18]
	v_add_u32_e32 v5, 0xffffff89, v19
	v_and_b32_e32 v17, 0x100000, v4
	v_mov_b32_e32 v18, v3
	v_cndmask_b32_e32 v5, v5, v14, vcc
	v_cmp_eq_u64_e32 vcc, 0, v[17:18]
	v_lshrrev_b32_e32 v15, 23, v4
	s_and_b64 vcc, vcc, s[0:1]
	v_add3_u32 v16, v5, v20, v15
	v_subbrev_co_u32_e32 v5, vcc, 0, v4, vcc
	v_add_u32_e32 v17, -1, v16
	v_and_b32_e32 v5, 0xfffff, v5
	v_add_u32_e32 v4, v5, v4
	v_mov_b32_e32 v5, v3
	v_cmp_ne_u32_e32 vcc, 0, v17
                                        ; implicit-def: $vgpr15
	s_and_saveexec_b64 s[0:1], vcc
	s_xor_b64 s[0:1], exec, s[0:1]
; %bb.20:                               ;   in Loop: Header=BB11_16 Depth=1
	v_and_b32_e32 v18, 0x1000000, v4
	v_mov_b32_e32 v19, v3
	v_cmp_eq_u64_e32 vcc, 0, v[18:19]
	v_bfe_u32 v15, v4, 24, 1
	v_lshrrev_b64 v[4:5], v15, v[4:5]
	v_cndmask_b32_e32 v15, v16, v17, vcc
; %bb.21:                               ;   in Loop: Header=BB11_16 Depth=1
	s_andn2_saveexec_b64 s[0:1], s[0:1]
; %bb.22:                               ;   in Loop: Header=BB11_16 Depth=1
	v_bfe_u32 v15, v4, 23, 1
; %bb.23:                               ;   in Loop: Header=BB11_16 Depth=1
	s_or_b64 exec, exec, s[0:1]
	v_lshrrev_b64 v[4:5], 20, v[4:5]
	v_cmp_gt_i32_e32 vcc, 16, v15
	v_cndmask_b32_e32 v5, 0, v5, vcc
	v_cndmask_b32_e32 v4, 7, v4, vcc
	v_and_b32_sdwa v1, v1, s21 dst_sel:DWORD dst_unused:UNUSED_PAD src0_sel:BYTE_3 src1_sel:DWORD
	v_min_i32_e32 v16, 15, v15
	v_cmp_eq_u64_e64 s[0:1], 0, v[4:5]
	v_cmp_eq_u32_e32 vcc, 0, v15
	v_lshl_or_b32 v1, v16, 3, v1
	v_and_or_b32 v1, v4, 7, v1
	s_and_b64 s[0:1], vcc, s[0:1]
	v_cndmask_b32_e64 v4, v1, 0, s[0:1]
.LBB11_24:                              ;   in Loop: Header=BB11_16 Depth=1
	s_or_b64 exec, exec, s[18:19]
                                        ; implicit-def: $vgpr1
.LBB11_25:                              ;   in Loop: Header=BB11_16 Depth=1
	s_andn2_saveexec_b64 s[0:1], s[16:17]
	s_cbranch_execz .LBB11_14
; %bb.26:                               ;   in Loop: Header=BB11_16 Depth=1
	v_or_b32_sdwa v4, v1, s22 dst_sel:DWORD dst_unused:UNUSED_PAD src0_sel:BYTE_3 src1_sel:DWORD
	s_branch .LBB11_14
.LBB11_27:
	s_endpgm
	.section	.rodata,"a",@progbits
	.p2align	6, 0x0
	.amdhsa_kernel _ZN4vllm42fused_add_rms_norm_static_fp8_quant_kernelIN3c108BFloat16ELi8ENS1_15Float8_e4m3fnuzEEENSt9enable_ifIXooeqT0_Li0Entsr12_typeConvertIT_EE6existsEvE4typeEPT1_PS5_iSA_PKS5_PKffii
		.amdhsa_group_segment_fixed_size 68
		.amdhsa_private_segment_fixed_size 0
		.amdhsa_kernarg_size 320
		.amdhsa_user_sgpr_count 6
		.amdhsa_user_sgpr_private_segment_buffer 1
		.amdhsa_user_sgpr_dispatch_ptr 0
		.amdhsa_user_sgpr_queue_ptr 0
		.amdhsa_user_sgpr_kernarg_segment_ptr 1
		.amdhsa_user_sgpr_dispatch_id 0
		.amdhsa_user_sgpr_flat_scratch_init 0
		.amdhsa_user_sgpr_private_segment_size 0
		.amdhsa_uses_dynamic_stack 0
		.amdhsa_system_sgpr_private_segment_wavefront_offset 0
		.amdhsa_system_sgpr_workgroup_id_x 1
		.amdhsa_system_sgpr_workgroup_id_y 0
		.amdhsa_system_sgpr_workgroup_id_z 0
		.amdhsa_system_sgpr_workgroup_info 0
		.amdhsa_system_vgpr_workitem_id 0
		.amdhsa_next_free_vgpr 21
		.amdhsa_next_free_sgpr 23
		.amdhsa_reserve_vcc 1
		.amdhsa_reserve_flat_scratch 0
		.amdhsa_float_round_mode_32 0
		.amdhsa_float_round_mode_16_64 0
		.amdhsa_float_denorm_mode_32 3
		.amdhsa_float_denorm_mode_16_64 3
		.amdhsa_dx10_clamp 1
		.amdhsa_ieee_mode 1
		.amdhsa_fp16_overflow 0
		.amdhsa_exception_fp_ieee_invalid_op 0
		.amdhsa_exception_fp_denorm_src 0
		.amdhsa_exception_fp_ieee_div_zero 0
		.amdhsa_exception_fp_ieee_overflow 0
		.amdhsa_exception_fp_ieee_underflow 0
		.amdhsa_exception_fp_ieee_inexact 0
		.amdhsa_exception_int_div_zero 0
	.end_amdhsa_kernel
	.section	.text._ZN4vllm42fused_add_rms_norm_static_fp8_quant_kernelIN3c108BFloat16ELi8ENS1_15Float8_e4m3fnuzEEENSt9enable_ifIXooeqT0_Li0Entsr12_typeConvertIT_EE6existsEvE4typeEPT1_PS5_iSA_PKS5_PKffii,"axG",@progbits,_ZN4vllm42fused_add_rms_norm_static_fp8_quant_kernelIN3c108BFloat16ELi8ENS1_15Float8_e4m3fnuzEEENSt9enable_ifIXooeqT0_Li0Entsr12_typeConvertIT_EE6existsEvE4typeEPT1_PS5_iSA_PKS5_PKffii,comdat
.Lfunc_end11:
	.size	_ZN4vllm42fused_add_rms_norm_static_fp8_quant_kernelIN3c108BFloat16ELi8ENS1_15Float8_e4m3fnuzEEENSt9enable_ifIXooeqT0_Li0Entsr12_typeConvertIT_EE6existsEvE4typeEPT1_PS5_iSA_PKS5_PKffii, .Lfunc_end11-_ZN4vllm42fused_add_rms_norm_static_fp8_quant_kernelIN3c108BFloat16ELi8ENS1_15Float8_e4m3fnuzEEENSt9enable_ifIXooeqT0_Li0Entsr12_typeConvertIT_EE6existsEvE4typeEPT1_PS5_iSA_PKS5_PKffii
                                        ; -- End function
	.set _ZN4vllm42fused_add_rms_norm_static_fp8_quant_kernelIN3c108BFloat16ELi8ENS1_15Float8_e4m3fnuzEEENSt9enable_ifIXooeqT0_Li0Entsr12_typeConvertIT_EE6existsEvE4typeEPT1_PS5_iSA_PKS5_PKffii.num_vgpr, 21
	.set _ZN4vllm42fused_add_rms_norm_static_fp8_quant_kernelIN3c108BFloat16ELi8ENS1_15Float8_e4m3fnuzEEENSt9enable_ifIXooeqT0_Li0Entsr12_typeConvertIT_EE6existsEvE4typeEPT1_PS5_iSA_PKS5_PKffii.num_agpr, 0
	.set _ZN4vllm42fused_add_rms_norm_static_fp8_quant_kernelIN3c108BFloat16ELi8ENS1_15Float8_e4m3fnuzEEENSt9enable_ifIXooeqT0_Li0Entsr12_typeConvertIT_EE6existsEvE4typeEPT1_PS5_iSA_PKS5_PKffii.numbered_sgpr, 23
	.set _ZN4vllm42fused_add_rms_norm_static_fp8_quant_kernelIN3c108BFloat16ELi8ENS1_15Float8_e4m3fnuzEEENSt9enable_ifIXooeqT0_Li0Entsr12_typeConvertIT_EE6existsEvE4typeEPT1_PS5_iSA_PKS5_PKffii.num_named_barrier, 0
	.set _ZN4vllm42fused_add_rms_norm_static_fp8_quant_kernelIN3c108BFloat16ELi8ENS1_15Float8_e4m3fnuzEEENSt9enable_ifIXooeqT0_Li0Entsr12_typeConvertIT_EE6existsEvE4typeEPT1_PS5_iSA_PKS5_PKffii.private_seg_size, 0
	.set _ZN4vllm42fused_add_rms_norm_static_fp8_quant_kernelIN3c108BFloat16ELi8ENS1_15Float8_e4m3fnuzEEENSt9enable_ifIXooeqT0_Li0Entsr12_typeConvertIT_EE6existsEvE4typeEPT1_PS5_iSA_PKS5_PKffii.uses_vcc, 1
	.set _ZN4vllm42fused_add_rms_norm_static_fp8_quant_kernelIN3c108BFloat16ELi8ENS1_15Float8_e4m3fnuzEEENSt9enable_ifIXooeqT0_Li0Entsr12_typeConvertIT_EE6existsEvE4typeEPT1_PS5_iSA_PKS5_PKffii.uses_flat_scratch, 0
	.set _ZN4vllm42fused_add_rms_norm_static_fp8_quant_kernelIN3c108BFloat16ELi8ENS1_15Float8_e4m3fnuzEEENSt9enable_ifIXooeqT0_Li0Entsr12_typeConvertIT_EE6existsEvE4typeEPT1_PS5_iSA_PKS5_PKffii.has_dyn_sized_stack, 0
	.set _ZN4vllm42fused_add_rms_norm_static_fp8_quant_kernelIN3c108BFloat16ELi8ENS1_15Float8_e4m3fnuzEEENSt9enable_ifIXooeqT0_Li0Entsr12_typeConvertIT_EE6existsEvE4typeEPT1_PS5_iSA_PKS5_PKffii.has_recursion, 0
	.set _ZN4vllm42fused_add_rms_norm_static_fp8_quant_kernelIN3c108BFloat16ELi8ENS1_15Float8_e4m3fnuzEEENSt9enable_ifIXooeqT0_Li0Entsr12_typeConvertIT_EE6existsEvE4typeEPT1_PS5_iSA_PKS5_PKffii.has_indirect_call, 0
	.section	.AMDGPU.csdata,"",@progbits
; Kernel info:
; codeLenInByte = 1908
; TotalNumSgprs: 27
; NumVgprs: 21
; ScratchSize: 0
; MemoryBound: 0
; FloatMode: 240
; IeeeMode: 1
; LDSByteSize: 68 bytes/workgroup (compile time only)
; SGPRBlocks: 3
; VGPRBlocks: 5
; NumSGPRsForWavesPerEU: 27
; NumVGPRsForWavesPerEU: 21
; Occupancy: 10
; WaveLimiterHint : 0
; COMPUTE_PGM_RSRC2:SCRATCH_EN: 0
; COMPUTE_PGM_RSRC2:USER_SGPR: 6
; COMPUTE_PGM_RSRC2:TRAP_HANDLER: 0
; COMPUTE_PGM_RSRC2:TGID_X_EN: 1
; COMPUTE_PGM_RSRC2:TGID_Y_EN: 0
; COMPUTE_PGM_RSRC2:TGID_Z_EN: 0
; COMPUTE_PGM_RSRC2:TIDIG_COMP_CNT: 0
	.section	.text._ZN4vllm42fused_add_rms_norm_static_fp8_quant_kernelIfLi0EN3c1013Float8_e4m3fnEEENSt9enable_ifIXooeqT0_Li0Entsr12_typeConvertIT_EE6existsEvE4typeEPT1_PS4_iS9_PKS4_PKffii,"axG",@progbits,_ZN4vllm42fused_add_rms_norm_static_fp8_quant_kernelIfLi0EN3c1013Float8_e4m3fnEEENSt9enable_ifIXooeqT0_Li0Entsr12_typeConvertIT_EE6existsEvE4typeEPT1_PS4_iS9_PKS4_PKffii,comdat
	.protected	_ZN4vllm42fused_add_rms_norm_static_fp8_quant_kernelIfLi0EN3c1013Float8_e4m3fnEEENSt9enable_ifIXooeqT0_Li0Entsr12_typeConvertIT_EE6existsEvE4typeEPT1_PS4_iS9_PKS4_PKffii ; -- Begin function _ZN4vllm42fused_add_rms_norm_static_fp8_quant_kernelIfLi0EN3c1013Float8_e4m3fnEEENSt9enable_ifIXooeqT0_Li0Entsr12_typeConvertIT_EE6existsEvE4typeEPT1_PS4_iS9_PKS4_PKffii
	.globl	_ZN4vllm42fused_add_rms_norm_static_fp8_quant_kernelIfLi0EN3c1013Float8_e4m3fnEEENSt9enable_ifIXooeqT0_Li0Entsr12_typeConvertIT_EE6existsEvE4typeEPT1_PS4_iS9_PKS4_PKffii
	.p2align	8
	.type	_ZN4vllm42fused_add_rms_norm_static_fp8_quant_kernelIfLi0EN3c1013Float8_e4m3fnEEENSt9enable_ifIXooeqT0_Li0Entsr12_typeConvertIT_EE6existsEvE4typeEPT1_PS4_iS9_PKS4_PKffii,@function
_ZN4vllm42fused_add_rms_norm_static_fp8_quant_kernelIfLi0EN3c1013Float8_e4m3fnEEENSt9enable_ifIXooeqT0_Li0Entsr12_typeConvertIT_EE6existsEvE4typeEPT1_PS4_iS9_PKS4_PKffii: ; @_ZN4vllm42fused_add_rms_norm_static_fp8_quant_kernelIfLi0EN3c1013Float8_e4m3fnEEENSt9enable_ifIXooeqT0_Li0Entsr12_typeConvertIT_EE6existsEvE4typeEPT1_PS4_iS9_PKS4_PKffii
; %bb.0:
	s_load_dword s20, s[4:5], 0x38
	s_load_dwordx2 s[12:13], s[4:5], 0x18
                                        ; implicit-def: $sgpr7
	s_waitcnt lgkmcnt(0)
	v_cmp_gt_i32_e64 s[0:1], s20, v0
	v_cmp_le_i32_e32 vcc, s20, v0
	s_and_saveexec_b64 s[2:3], vcc
	s_xor_b64 s[2:3], exec, s[2:3]
	s_cbranch_execz .LBB12_2
; %bb.1:
	s_load_dword s7, s[4:5], 0x4c
	s_waitcnt lgkmcnt(0)
	s_and_b32 s7, s7, 0xffff
.LBB12_2:
	s_or_saveexec_b64 s[2:3], s[2:3]
	s_load_dwordx2 s[14:15], s[4:5], 0x0
	s_load_dwordx4 s[8:11], s[4:5], 0x20
	v_mov_b32_e32 v3, 0
	v_mov_b32_e32 v1, s6
	v_mov_b32_e32 v6, s7
	s_xor_b64 exec, exec, s[2:3]
	s_cbranch_execz .LBB12_6
; %bb.3:
	s_load_dword s22, s[4:5], 0x10
	s_load_dword s7, s[4:5], 0x4c
	s_load_dwordx2 s[16:17], s[4:5], 0x8
	s_mul_i32 s21, s20, s6
	v_mov_b32_e32 v2, 0
	s_waitcnt lgkmcnt(0)
	s_mul_i32 s22, s22, s6
	s_and_b32 s7, s7, 0xffff
	s_mov_b64 s[18:19], 0
	v_mov_b32_e32 v4, s17
	v_mov_b32_e32 v5, s13
	;; [unrolled: 1-line block ×4, first 2 shown]
.LBB12_4:                               ; =>This Inner Loop Header: Depth=1
	v_add_u32_e32 v1, s22, v6
	v_lshlrev_b64 v[7:8], 2, v[1:2]
	v_add_u32_e32 v1, s21, v6
	v_lshlrev_b64 v[9:10], 2, v[1:2]
	v_add_co_u32_e32 v7, vcc, s16, v7
	v_addc_co_u32_e32 v8, vcc, v4, v8, vcc
	global_load_dword v1, v[7:8], off
	v_add_co_u32_e32 v7, vcc, s12, v9
	v_addc_co_u32_e32 v8, vcc, v5, v10, vcc
	global_load_dword v9, v[7:8], off
	v_add_u32_e32 v6, s7, v6
	v_cmp_le_i32_e32 vcc, s20, v6
	s_or_b64 s[18:19], vcc, s[18:19]
	s_waitcnt vmcnt(0)
	v_add_f32_e32 v1, v1, v9
	v_fmac_f32_e32 v3, v1, v1
	global_store_dword v[7:8], v1, off
	s_andn2_b64 exec, exec, s[18:19]
	s_cbranch_execnz .LBB12_4
; %bb.5:
	s_or_b64 exec, exec, s[18:19]
	v_mov_b32_e32 v1, s6
	v_mov_b32_e32 v6, s7
.LBB12_6:
	s_or_b64 exec, exec, s[2:3]
	v_mbcnt_lo_u32_b32 v2, -1, 0
	v_mbcnt_hi_u32_b32 v2, -1, v2
	v_and_b32_e32 v4, 63, v2
	v_cmp_ne_u32_e32 vcc, 63, v4
	v_addc_co_u32_e32 v5, vcc, 0, v2, vcc
	v_lshlrev_b32_e32 v5, 2, v5
	ds_bpermute_b32 v5, v5, v3
	v_and_b32_e32 v7, 0x3c0, v0
	v_sub_u32_e64 v7, v6, v7 clamp
	v_add_u32_e32 v8, 1, v2
	v_cmp_lt_u32_e32 vcc, v8, v7
	s_waitcnt lgkmcnt(0)
	v_add_f32_e32 v5, v3, v5
	v_cndmask_b32_e32 v3, v3, v5, vcc
	v_cmp_gt_u32_e32 vcc, 62, v4
	v_cndmask_b32_e64 v5, 0, 2, vcc
	v_add_lshl_u32 v5, v5, v2, 2
	ds_bpermute_b32 v5, v5, v3
	v_add_u32_e32 v8, 2, v2
	v_cmp_lt_u32_e32 vcc, v8, v7
	v_add_u32_e32 v8, 4, v2
	s_waitcnt lgkmcnt(0)
	v_add_f32_e32 v5, v3, v5
	v_cndmask_b32_e32 v3, v3, v5, vcc
	v_cmp_gt_u32_e32 vcc, 60, v4
	v_cndmask_b32_e64 v5, 0, 4, vcc
	v_add_lshl_u32 v5, v5, v2, 2
	ds_bpermute_b32 v5, v5, v3
	v_cmp_lt_u32_e32 vcc, v8, v7
	v_add_u32_e32 v8, 8, v2
	s_waitcnt lgkmcnt(0)
	v_add_f32_e32 v5, v3, v5
	v_cndmask_b32_e32 v3, v3, v5, vcc
	v_cmp_gt_u32_e32 vcc, 56, v4
	v_cndmask_b32_e64 v5, 0, 8, vcc
	v_add_lshl_u32 v5, v5, v2, 2
	ds_bpermute_b32 v5, v5, v3
	;; [unrolled: 9-line block ×3, first 2 shown]
	v_add_u32_e32 v5, 16, v2
	v_cmp_lt_u32_e32 vcc, v5, v7
	s_waitcnt lgkmcnt(0)
	v_add_f32_e32 v4, v3, v4
	v_cndmask_b32_e32 v4, v3, v4, vcc
	v_lshlrev_b32_e32 v3, 2, v2
	v_or_b32_e32 v5, 0x80, v3
	ds_bpermute_b32 v5, v5, v4
	v_cmp_lt_u32_e32 vcc, v8, v7
	s_waitcnt lgkmcnt(0)
	v_add_f32_e32 v5, v4, v5
	v_cndmask_b32_e32 v4, v4, v5, vcc
	v_cmp_eq_u32_e32 vcc, 0, v2
	s_and_saveexec_b64 s[2:3], vcc
; %bb.7:
	v_lshrrev_b32_e32 v5, 4, v0
	v_and_b32_e32 v5, 60, v5
	ds_write_b32 v5, v4
; %bb.8:
	s_or_b64 exec, exec, s[2:3]
	v_cmp_gt_u32_e32 vcc, 16, v0
	s_waitcnt vmcnt(0) lgkmcnt(0)
	s_barrier
	s_and_saveexec_b64 s[6:7], vcc
	s_cbranch_execz .LBB12_10
; %bb.9:
	ds_read_b32 v4, v3
	v_and_b32_e32 v5, 15, v2
	v_cmp_ne_u32_e32 vcc, 15, v5
	v_addc_co_u32_e32 v7, vcc, 0, v2, vcc
	v_lshlrev_b32_e32 v7, 2, v7
	s_waitcnt lgkmcnt(0)
	ds_bpermute_b32 v7, v7, v4
	v_add_u32_e32 v8, 63, v6
	v_lshrrev_b32_e32 v8, 6, v8
	v_add_u32_e32 v9, 1, v5
	v_cmp_gt_u32_e64 s[2:3], 14, v5
	s_waitcnt lgkmcnt(0)
	v_add_f32_e32 v7, v4, v7
	v_cmp_lt_u32_e32 vcc, v9, v8
	v_cndmask_b32_e64 v9, 0, 2, s[2:3]
	v_cndmask_b32_e32 v7, v4, v7, vcc
	v_add_lshl_u32 v9, v9, v2, 2
	ds_bpermute_b32 v9, v9, v7
	v_add_u32_e32 v10, 2, v5
	v_cmp_lt_u32_e64 s[2:3], v10, v8
	v_or_b32_e32 v3, 32, v3
	s_waitcnt lgkmcnt(0)
	v_add_f32_e32 v9, v7, v9
	v_cndmask_b32_e64 v7, v7, v9, s[2:3]
	v_cmp_gt_u32_e64 s[2:3], 12, v5
	v_cndmask_b32_e64 v9, 0, 4, s[2:3]
	v_add_lshl_u32 v2, v9, v2, 2
	ds_bpermute_b32 v2, v2, v7
	v_add_u32_e32 v9, 4, v5
	v_cmp_lt_u32_e64 s[2:3], v9, v8
	v_add_u32_e32 v5, 8, v5
	s_waitcnt lgkmcnt(0)
	v_add_f32_e32 v2, v7, v2
	v_cndmask_b32_e64 v2, v7, v2, s[2:3]
	ds_bpermute_b32 v3, v3, v2
	v_cmp_lt_u32_e64 s[2:3], v5, v8
	s_waitcnt lgkmcnt(0)
	v_add_f32_e32 v3, v2, v3
	v_cndmask_b32_e64 v2, v2, v3, s[2:3]
	v_cndmask_b32_e32 v4, v4, v2, vcc
.LBB12_10:
	s_or_b64 exec, exec, s[6:7]
	v_cmp_eq_u32_e32 vcc, 0, v0
	s_and_saveexec_b64 s[2:3], vcc
	s_cbranch_execz .LBB12_12
; %bb.11:
	v_cvt_f32_i32_e32 v2, s20
	s_load_dword s4, s[4:5], 0x30
	s_mov_b32 s5, 0x800000
	v_div_scale_f32 v3, s[6:7], v2, v2, v4
	v_div_scale_f32 v5, vcc, v4, v2, v4
	v_rcp_f32_e32 v7, v3
	v_fma_f32 v8, -v3, v7, 1.0
	v_fmac_f32_e32 v7, v8, v7
	v_mul_f32_e32 v8, v5, v7
	v_fma_f32 v9, -v3, v8, v5
	v_fmac_f32_e32 v8, v9, v7
	v_fma_f32 v3, -v3, v8, v5
	v_div_fmas_f32 v3, v3, v7, v8
	v_div_fixup_f32 v2, v3, v2, v4
	s_waitcnt lgkmcnt(0)
	v_add_f32_e32 v2, s4, v2
	v_mul_f32_e32 v3, 0x4b800000, v2
	v_cmp_gt_f32_e32 vcc, s5, v2
	v_cndmask_b32_e32 v2, v2, v3, vcc
	v_rsq_f32_e32 v2, v2
	v_mul_f32_e32 v3, 0x45800000, v2
	v_cndmask_b32_e32 v2, v2, v3, vcc
	v_mov_b32_e32 v3, 0
	ds_write_b32 v3, v2 offset:64
.LBB12_12:
	s_or_b64 exec, exec, s[2:3]
	s_waitcnt lgkmcnt(0)
	s_barrier
	s_and_saveexec_b64 s[2:3], s[0:1]
	s_cbranch_execz .LBB12_33
; %bb.13:
	s_load_dword s10, s[10:11], 0x0
	s_mov_b64 s[2:3], 0
	v_mov_b32_e32 v8, s13
	v_mov_b32_e32 v9, s9
	s_mov_b64 s[4:5], 0x7f800000
	s_waitcnt lgkmcnt(0)
	v_div_scale_f32 v2, s[0:1], s10, s10, 1.0
	v_div_scale_f32 v3, vcc, 1.0, s10, 1.0
	s_movk_i32 s9, 0x80
	s_mov_b64 s[6:7], 0x43e00001
	s_movk_i32 s13, 0x79
	s_movk_i32 s21, 0x7f
	v_mov_b32_e32 v11, 0x78
	v_mov_b32_e32 v13, 0xffffff89
	v_rcp_f32_e32 v4, v2
	v_fma_f32 v5, -v2, v4, 1.0
	v_fmac_f32_e32 v4, v5, v4
	v_mul_f32_e32 v5, v3, v4
	v_fma_f32 v7, -v2, v5, v3
	v_fmac_f32_e32 v5, v7, v4
	v_fma_f32 v2, -v2, v5, v3
	v_div_fmas_f32 v2, v2, v4, v5
	v_mov_b32_e32 v3, 0
	ds_read_b32 v10, v3 offset:64
	v_mul_lo_u32 v7, s20, v1
	v_div_fixup_f32 v12, v2, s10, 1.0
	s_branch .LBB12_15
.LBB12_14:                              ;   in Loop: Header=BB12_15 Depth=1
	s_or_b64 exec, exec, s[0:1]
	v_mov_b32_e32 v4, s15
	v_add_co_u32_e32 v1, vcc, s14, v2
	v_addc_co_u32_e32 v2, vcc, 0, v4, vcc
	v_add_u32_e32 v0, v0, v6
	v_cmp_le_i32_e32 vcc, s20, v0
	s_or_b64 s[2:3], vcc, s[2:3]
	global_store_byte v[1:2], v5, off
	s_andn2_b64 exec, exec, s[2:3]
	s_cbranch_execz .LBB12_33
.LBB12_15:                              ; =>This Inner Loop Header: Depth=1
	v_add_u32_e32 v2, v7, v0
	v_lshlrev_b64 v[4:5], 2, v[2:3]
	v_ashrrev_i32_e32 v1, 31, v0
	v_add_co_u32_e32 v4, vcc, s12, v4
	v_addc_co_u32_e32 v5, vcc, v8, v5, vcc
	global_load_dword v14, v[4:5], off
	v_lshlrev_b64 v[4:5], 2, v[0:1]
	v_mov_b32_e32 v15, v3
	v_add_co_u32_e32 v4, vcc, s8, v4
	v_addc_co_u32_e32 v5, vcc, v9, v5, vcc
	global_load_dword v1, v[4:5], off
                                        ; implicit-def: $vgpr5
	s_waitcnt vmcnt(1) lgkmcnt(0)
	v_mul_f32_e32 v4, v14, v10
	s_waitcnt vmcnt(0)
	v_mul_f32_e32 v1, v4, v1
	v_mul_f32_e32 v1, v12, v1
	v_min_f32_e32 v1, 0x43e00000, v1
	v_max_f32_e32 v4, 0xc3e00000, v1
	v_and_b32_e32 v14, 0x7f800000, v4
	v_cmp_ne_u64_e32 vcc, s[4:5], v[14:15]
	s_and_saveexec_b64 s[0:1], vcc
	s_xor_b64 s[10:11], exec, s[0:1]
	s_cbranch_execz .LBB12_31
; %bb.16:                               ;   in Loop: Header=BB12_15 Depth=1
	v_and_b32_e32 v14, 0x7fffffff, v4
	v_mov_b32_e32 v15, v3
	v_cmp_gt_u64_e32 vcc, s[6:7], v[14:15]
	v_and_b32_sdwa v1, v4, s9 dst_sel:DWORD dst_unused:UNUSED_PAD src0_sel:BYTE_3 src1_sel:DWORD
                                        ; implicit-def: $vgpr5
	s_and_saveexec_b64 s[0:1], vcc
	s_xor_b64 s[16:17], exec, s[0:1]
	s_cbranch_execz .LBB12_28
; %bb.17:                               ;   in Loop: Header=BB12_15 Depth=1
	v_cmp_ne_u32_e32 vcc, 0, v4
	v_mov_b32_e32 v5, 0
	s_and_saveexec_b64 s[18:19], vcc
	s_cbranch_execz .LBB12_27
; %bb.18:                               ;   in Loop: Header=BB12_15 Depth=1
	v_bfe_u32 v18, v4, 23, 8
	v_and_b32_e32 v5, 0x7fffff, v4
	v_sub_u32_e64 v4, s13, v18 clamp
	v_cmp_eq_u32_e32 vcc, 0, v18
	v_or_b32_e32 v14, 0x800000, v5
	v_cndmask_b32_e32 v19, v4, v11, vcc
	v_cndmask_b32_e32 v4, v14, v5, vcc
	v_add_u32_e32 v5, 20, v19
	v_lshlrev_b64 v[14:15], v5, -1
	v_mov_b32_e32 v5, v3
	v_add_u32_e32 v16, 19, v19
	v_lshlrev_b64 v[16:17], v16, 1
	v_bfi_b32 v14, v14, 0, v4
	v_lshrrev_b64 v[4:5], v19, v[4:5]
	v_bfi_b32 v15, v15, 0, 0
	v_cmp_eq_u64_e64 s[0:1], v[14:15], v[16:17]
	v_add_u32_e32 v5, 0xffffff88, v18
	v_and_b32_e32 v16, 0x100000, v4
	v_mov_b32_e32 v17, v3
	v_cndmask_b32_e32 v5, v5, v13, vcc
	v_cmp_eq_u64_e32 vcc, 0, v[16:17]
	v_lshrrev_b32_e32 v14, 23, v4
	s_and_b64 vcc, vcc, s[0:1]
	v_add3_u32 v15, v5, v19, v14
	v_subbrev_co_u32_e32 v5, vcc, 0, v4, vcc
	v_add_u32_e32 v16, -1, v15
	v_and_b32_e32 v5, 0xfffff, v5
	v_add_u32_e32 v4, v5, v4
	v_mov_b32_e32 v5, v3
	v_cmp_ne_u32_e32 vcc, 0, v16
                                        ; implicit-def: $vgpr14
	s_and_saveexec_b64 s[0:1], vcc
	s_xor_b64 s[0:1], exec, s[0:1]
; %bb.19:                               ;   in Loop: Header=BB12_15 Depth=1
	v_and_b32_e32 v17, 0x1000000, v4
	v_mov_b32_e32 v18, v3
	v_cmp_eq_u64_e32 vcc, 0, v[17:18]
	v_bfe_u32 v14, v4, 24, 1
	v_lshrrev_b64 v[4:5], v14, v[4:5]
	v_cndmask_b32_e32 v14, v15, v16, vcc
; %bb.20:                               ;   in Loop: Header=BB12_15 Depth=1
	s_andn2_saveexec_b64 s[0:1], s[0:1]
; %bb.21:                               ;   in Loop: Header=BB12_15 Depth=1
	v_bfe_u32 v14, v4, 23, 1
; %bb.22:                               ;   in Loop: Header=BB12_15 Depth=1
	s_or_b64 exec, exec, s[0:1]
	v_lshrrev_b64 v[4:5], 20, v[4:5]
	v_cmp_gt_i32_e32 vcc, 16, v14
	v_cndmask_b32_e32 v5, 0, v5, vcc
	v_cndmask_b32_e32 v4, 7, v4, vcc
	v_cmp_ne_u64_e32 vcc, 0, v[4:5]
	v_cmp_ne_u32_e64 s[0:1], 0, v14
	s_or_b64 s[0:1], s[0:1], vcc
                                        ; implicit-def: $vgpr5
	s_and_saveexec_b64 s[22:23], s[0:1]
	s_xor_b64 s[0:1], exec, s[22:23]
; %bb.23:                               ;   in Loop: Header=BB12_15 Depth=1
	v_min_i32_e32 v5, 15, v14
	v_lshl_or_b32 v1, v5, 3, v1
	v_and_or_b32 v5, v4, 7, v1
                                        ; implicit-def: $vgpr1
; %bb.24:                               ;   in Loop: Header=BB12_15 Depth=1
	s_andn2_saveexec_b64 s[0:1], s[0:1]
; %bb.25:                               ;   in Loop: Header=BB12_15 Depth=1
	v_mov_b32_e32 v5, v1
; %bb.26:                               ;   in Loop: Header=BB12_15 Depth=1
	s_or_b64 exec, exec, s[0:1]
.LBB12_27:                              ;   in Loop: Header=BB12_15 Depth=1
	s_or_b64 exec, exec, s[18:19]
                                        ; implicit-def: $vgpr1
.LBB12_28:                              ;   in Loop: Header=BB12_15 Depth=1
	s_andn2_saveexec_b64 s[0:1], s[16:17]
; %bb.29:                               ;   in Loop: Header=BB12_15 Depth=1
	v_or_b32_e32 v5, 0x7e, v1
; %bb.30:                               ;   in Loop: Header=BB12_15 Depth=1
	s_or_b64 exec, exec, s[0:1]
                                        ; implicit-def: $vgpr4
.LBB12_31:                              ;   in Loop: Header=BB12_15 Depth=1
	s_andn2_saveexec_b64 s[0:1], s[10:11]
	s_cbranch_execz .LBB12_14
; %bb.32:                               ;   in Loop: Header=BB12_15 Depth=1
	v_or_b32_sdwa v5, v4, s21 dst_sel:DWORD dst_unused:UNUSED_PAD src0_sel:BYTE_3 src1_sel:DWORD
	s_branch .LBB12_14
.LBB12_33:
	s_endpgm
	.section	.rodata,"a",@progbits
	.p2align	6, 0x0
	.amdhsa_kernel _ZN4vllm42fused_add_rms_norm_static_fp8_quant_kernelIfLi0EN3c1013Float8_e4m3fnEEENSt9enable_ifIXooeqT0_Li0Entsr12_typeConvertIT_EE6existsEvE4typeEPT1_PS4_iS9_PKS4_PKffii
		.amdhsa_group_segment_fixed_size 68
		.amdhsa_private_segment_fixed_size 0
		.amdhsa_kernarg_size 320
		.amdhsa_user_sgpr_count 6
		.amdhsa_user_sgpr_private_segment_buffer 1
		.amdhsa_user_sgpr_dispatch_ptr 0
		.amdhsa_user_sgpr_queue_ptr 0
		.amdhsa_user_sgpr_kernarg_segment_ptr 1
		.amdhsa_user_sgpr_dispatch_id 0
		.amdhsa_user_sgpr_flat_scratch_init 0
		.amdhsa_user_sgpr_private_segment_size 0
		.amdhsa_uses_dynamic_stack 0
		.amdhsa_system_sgpr_private_segment_wavefront_offset 0
		.amdhsa_system_sgpr_workgroup_id_x 1
		.amdhsa_system_sgpr_workgroup_id_y 0
		.amdhsa_system_sgpr_workgroup_id_z 0
		.amdhsa_system_sgpr_workgroup_info 0
		.amdhsa_system_vgpr_workitem_id 0
		.amdhsa_next_free_vgpr 20
		.amdhsa_next_free_sgpr 24
		.amdhsa_reserve_vcc 1
		.amdhsa_reserve_flat_scratch 0
		.amdhsa_float_round_mode_32 0
		.amdhsa_float_round_mode_16_64 0
		.amdhsa_float_denorm_mode_32 3
		.amdhsa_float_denorm_mode_16_64 3
		.amdhsa_dx10_clamp 1
		.amdhsa_ieee_mode 1
		.amdhsa_fp16_overflow 0
		.amdhsa_exception_fp_ieee_invalid_op 0
		.amdhsa_exception_fp_denorm_src 0
		.amdhsa_exception_fp_ieee_div_zero 0
		.amdhsa_exception_fp_ieee_overflow 0
		.amdhsa_exception_fp_ieee_underflow 0
		.amdhsa_exception_fp_ieee_inexact 0
		.amdhsa_exception_int_div_zero 0
	.end_amdhsa_kernel
	.section	.text._ZN4vllm42fused_add_rms_norm_static_fp8_quant_kernelIfLi0EN3c1013Float8_e4m3fnEEENSt9enable_ifIXooeqT0_Li0Entsr12_typeConvertIT_EE6existsEvE4typeEPT1_PS4_iS9_PKS4_PKffii,"axG",@progbits,_ZN4vllm42fused_add_rms_norm_static_fp8_quant_kernelIfLi0EN3c1013Float8_e4m3fnEEENSt9enable_ifIXooeqT0_Li0Entsr12_typeConvertIT_EE6existsEvE4typeEPT1_PS4_iS9_PKS4_PKffii,comdat
.Lfunc_end12:
	.size	_ZN4vllm42fused_add_rms_norm_static_fp8_quant_kernelIfLi0EN3c1013Float8_e4m3fnEEENSt9enable_ifIXooeqT0_Li0Entsr12_typeConvertIT_EE6existsEvE4typeEPT1_PS4_iS9_PKS4_PKffii, .Lfunc_end12-_ZN4vllm42fused_add_rms_norm_static_fp8_quant_kernelIfLi0EN3c1013Float8_e4m3fnEEENSt9enable_ifIXooeqT0_Li0Entsr12_typeConvertIT_EE6existsEvE4typeEPT1_PS4_iS9_PKS4_PKffii
                                        ; -- End function
	.set _ZN4vllm42fused_add_rms_norm_static_fp8_quant_kernelIfLi0EN3c1013Float8_e4m3fnEEENSt9enable_ifIXooeqT0_Li0Entsr12_typeConvertIT_EE6existsEvE4typeEPT1_PS4_iS9_PKS4_PKffii.num_vgpr, 20
	.set _ZN4vllm42fused_add_rms_norm_static_fp8_quant_kernelIfLi0EN3c1013Float8_e4m3fnEEENSt9enable_ifIXooeqT0_Li0Entsr12_typeConvertIT_EE6existsEvE4typeEPT1_PS4_iS9_PKS4_PKffii.num_agpr, 0
	.set _ZN4vllm42fused_add_rms_norm_static_fp8_quant_kernelIfLi0EN3c1013Float8_e4m3fnEEENSt9enable_ifIXooeqT0_Li0Entsr12_typeConvertIT_EE6existsEvE4typeEPT1_PS4_iS9_PKS4_PKffii.numbered_sgpr, 24
	.set _ZN4vllm42fused_add_rms_norm_static_fp8_quant_kernelIfLi0EN3c1013Float8_e4m3fnEEENSt9enable_ifIXooeqT0_Li0Entsr12_typeConvertIT_EE6existsEvE4typeEPT1_PS4_iS9_PKS4_PKffii.num_named_barrier, 0
	.set _ZN4vllm42fused_add_rms_norm_static_fp8_quant_kernelIfLi0EN3c1013Float8_e4m3fnEEENSt9enable_ifIXooeqT0_Li0Entsr12_typeConvertIT_EE6existsEvE4typeEPT1_PS4_iS9_PKS4_PKffii.private_seg_size, 0
	.set _ZN4vllm42fused_add_rms_norm_static_fp8_quant_kernelIfLi0EN3c1013Float8_e4m3fnEEENSt9enable_ifIXooeqT0_Li0Entsr12_typeConvertIT_EE6existsEvE4typeEPT1_PS4_iS9_PKS4_PKffii.uses_vcc, 1
	.set _ZN4vllm42fused_add_rms_norm_static_fp8_quant_kernelIfLi0EN3c1013Float8_e4m3fnEEENSt9enable_ifIXooeqT0_Li0Entsr12_typeConvertIT_EE6existsEvE4typeEPT1_PS4_iS9_PKS4_PKffii.uses_flat_scratch, 0
	.set _ZN4vllm42fused_add_rms_norm_static_fp8_quant_kernelIfLi0EN3c1013Float8_e4m3fnEEENSt9enable_ifIXooeqT0_Li0Entsr12_typeConvertIT_EE6existsEvE4typeEPT1_PS4_iS9_PKS4_PKffii.has_dyn_sized_stack, 0
	.set _ZN4vllm42fused_add_rms_norm_static_fp8_quant_kernelIfLi0EN3c1013Float8_e4m3fnEEENSt9enable_ifIXooeqT0_Li0Entsr12_typeConvertIT_EE6existsEvE4typeEPT1_PS4_iS9_PKS4_PKffii.has_recursion, 0
	.set _ZN4vllm42fused_add_rms_norm_static_fp8_quant_kernelIfLi0EN3c1013Float8_e4m3fnEEENSt9enable_ifIXooeqT0_Li0Entsr12_typeConvertIT_EE6existsEvE4typeEPT1_PS4_iS9_PKS4_PKffii.has_indirect_call, 0
	.section	.AMDGPU.csdata,"",@progbits
; Kernel info:
; codeLenInByte = 1784
; TotalNumSgprs: 28
; NumVgprs: 20
; ScratchSize: 0
; MemoryBound: 0
; FloatMode: 240
; IeeeMode: 1
; LDSByteSize: 68 bytes/workgroup (compile time only)
; SGPRBlocks: 3
; VGPRBlocks: 4
; NumSGPRsForWavesPerEU: 28
; NumVGPRsForWavesPerEU: 20
; Occupancy: 10
; WaveLimiterHint : 0
; COMPUTE_PGM_RSRC2:SCRATCH_EN: 0
; COMPUTE_PGM_RSRC2:USER_SGPR: 6
; COMPUTE_PGM_RSRC2:TRAP_HANDLER: 0
; COMPUTE_PGM_RSRC2:TGID_X_EN: 1
; COMPUTE_PGM_RSRC2:TGID_Y_EN: 0
; COMPUTE_PGM_RSRC2:TGID_Z_EN: 0
; COMPUTE_PGM_RSRC2:TIDIG_COMP_CNT: 0
	.section	.text._ZN4vllm42fused_add_rms_norm_static_fp8_quant_kernelIfLi0EN3c1015Float8_e4m3fnuzEEENSt9enable_ifIXooeqT0_Li0Entsr12_typeConvertIT_EE6existsEvE4typeEPT1_PS4_iS9_PKS4_PKffii,"axG",@progbits,_ZN4vllm42fused_add_rms_norm_static_fp8_quant_kernelIfLi0EN3c1015Float8_e4m3fnuzEEENSt9enable_ifIXooeqT0_Li0Entsr12_typeConvertIT_EE6existsEvE4typeEPT1_PS4_iS9_PKS4_PKffii,comdat
	.protected	_ZN4vllm42fused_add_rms_norm_static_fp8_quant_kernelIfLi0EN3c1015Float8_e4m3fnuzEEENSt9enable_ifIXooeqT0_Li0Entsr12_typeConvertIT_EE6existsEvE4typeEPT1_PS4_iS9_PKS4_PKffii ; -- Begin function _ZN4vllm42fused_add_rms_norm_static_fp8_quant_kernelIfLi0EN3c1015Float8_e4m3fnuzEEENSt9enable_ifIXooeqT0_Li0Entsr12_typeConvertIT_EE6existsEvE4typeEPT1_PS4_iS9_PKS4_PKffii
	.globl	_ZN4vllm42fused_add_rms_norm_static_fp8_quant_kernelIfLi0EN3c1015Float8_e4m3fnuzEEENSt9enable_ifIXooeqT0_Li0Entsr12_typeConvertIT_EE6existsEvE4typeEPT1_PS4_iS9_PKS4_PKffii
	.p2align	8
	.type	_ZN4vllm42fused_add_rms_norm_static_fp8_quant_kernelIfLi0EN3c1015Float8_e4m3fnuzEEENSt9enable_ifIXooeqT0_Li0Entsr12_typeConvertIT_EE6existsEvE4typeEPT1_PS4_iS9_PKS4_PKffii,@function
_ZN4vllm42fused_add_rms_norm_static_fp8_quant_kernelIfLi0EN3c1015Float8_e4m3fnuzEEENSt9enable_ifIXooeqT0_Li0Entsr12_typeConvertIT_EE6existsEvE4typeEPT1_PS4_iS9_PKS4_PKffii: ; @_ZN4vllm42fused_add_rms_norm_static_fp8_quant_kernelIfLi0EN3c1015Float8_e4m3fnuzEEENSt9enable_ifIXooeqT0_Li0Entsr12_typeConvertIT_EE6existsEvE4typeEPT1_PS4_iS9_PKS4_PKffii
; %bb.0:
	s_load_dword s20, s[4:5], 0x38
	s_load_dwordx2 s[12:13], s[4:5], 0x18
                                        ; implicit-def: $sgpr7
	s_waitcnt lgkmcnt(0)
	v_cmp_gt_i32_e64 s[0:1], s20, v0
	v_cmp_le_i32_e32 vcc, s20, v0
	s_and_saveexec_b64 s[2:3], vcc
	s_xor_b64 s[2:3], exec, s[2:3]
	s_cbranch_execz .LBB13_2
; %bb.1:
	s_load_dword s7, s[4:5], 0x4c
	s_waitcnt lgkmcnt(0)
	s_and_b32 s7, s7, 0xffff
.LBB13_2:
	s_or_saveexec_b64 s[2:3], s[2:3]
	s_load_dwordx2 s[14:15], s[4:5], 0x0
	s_load_dwordx4 s[8:11], s[4:5], 0x20
	v_mov_b32_e32 v3, 0
	v_mov_b32_e32 v1, s6
	;; [unrolled: 1-line block ×3, first 2 shown]
	s_xor_b64 exec, exec, s[2:3]
	s_cbranch_execz .LBB13_6
; %bb.3:
	s_load_dword s22, s[4:5], 0x10
	s_load_dword s7, s[4:5], 0x4c
	s_load_dwordx2 s[16:17], s[4:5], 0x8
	s_mul_i32 s21, s20, s6
	v_mov_b32_e32 v2, 0
	s_waitcnt lgkmcnt(0)
	s_mul_i32 s22, s22, s6
	s_and_b32 s7, s7, 0xffff
	s_mov_b64 s[18:19], 0
	v_mov_b32_e32 v4, s17
	v_mov_b32_e32 v5, s13
	;; [unrolled: 1-line block ×4, first 2 shown]
.LBB13_4:                               ; =>This Inner Loop Header: Depth=1
	v_add_u32_e32 v1, s22, v6
	v_lshlrev_b64 v[7:8], 2, v[1:2]
	v_add_u32_e32 v1, s21, v6
	v_lshlrev_b64 v[9:10], 2, v[1:2]
	v_add_co_u32_e32 v7, vcc, s16, v7
	v_addc_co_u32_e32 v8, vcc, v4, v8, vcc
	global_load_dword v1, v[7:8], off
	v_add_co_u32_e32 v7, vcc, s12, v9
	v_addc_co_u32_e32 v8, vcc, v5, v10, vcc
	global_load_dword v9, v[7:8], off
	v_add_u32_e32 v6, s7, v6
	v_cmp_le_i32_e32 vcc, s20, v6
	s_or_b64 s[18:19], vcc, s[18:19]
	s_waitcnt vmcnt(0)
	v_add_f32_e32 v1, v1, v9
	v_fmac_f32_e32 v3, v1, v1
	global_store_dword v[7:8], v1, off
	s_andn2_b64 exec, exec, s[18:19]
	s_cbranch_execnz .LBB13_4
; %bb.5:
	s_or_b64 exec, exec, s[18:19]
	v_mov_b32_e32 v1, s6
	v_mov_b32_e32 v6, s7
.LBB13_6:
	s_or_b64 exec, exec, s[2:3]
	v_mbcnt_lo_u32_b32 v2, -1, 0
	v_mbcnt_hi_u32_b32 v2, -1, v2
	v_and_b32_e32 v4, 63, v2
	v_cmp_ne_u32_e32 vcc, 63, v4
	v_addc_co_u32_e32 v5, vcc, 0, v2, vcc
	v_lshlrev_b32_e32 v5, 2, v5
	ds_bpermute_b32 v5, v5, v3
	v_and_b32_e32 v7, 0x3c0, v0
	v_sub_u32_e64 v7, v6, v7 clamp
	v_add_u32_e32 v8, 1, v2
	v_cmp_lt_u32_e32 vcc, v8, v7
	s_waitcnt lgkmcnt(0)
	v_add_f32_e32 v5, v3, v5
	v_cndmask_b32_e32 v3, v3, v5, vcc
	v_cmp_gt_u32_e32 vcc, 62, v4
	v_cndmask_b32_e64 v5, 0, 2, vcc
	v_add_lshl_u32 v5, v5, v2, 2
	ds_bpermute_b32 v5, v5, v3
	v_add_u32_e32 v8, 2, v2
	v_cmp_lt_u32_e32 vcc, v8, v7
	v_add_u32_e32 v8, 4, v2
	s_waitcnt lgkmcnt(0)
	v_add_f32_e32 v5, v3, v5
	v_cndmask_b32_e32 v3, v3, v5, vcc
	v_cmp_gt_u32_e32 vcc, 60, v4
	v_cndmask_b32_e64 v5, 0, 4, vcc
	v_add_lshl_u32 v5, v5, v2, 2
	ds_bpermute_b32 v5, v5, v3
	v_cmp_lt_u32_e32 vcc, v8, v7
	v_add_u32_e32 v8, 8, v2
	s_waitcnt lgkmcnt(0)
	v_add_f32_e32 v5, v3, v5
	v_cndmask_b32_e32 v3, v3, v5, vcc
	v_cmp_gt_u32_e32 vcc, 56, v4
	v_cndmask_b32_e64 v5, 0, 8, vcc
	v_add_lshl_u32 v5, v5, v2, 2
	ds_bpermute_b32 v5, v5, v3
	;; [unrolled: 9-line block ×3, first 2 shown]
	v_add_u32_e32 v5, 16, v2
	v_cmp_lt_u32_e32 vcc, v5, v7
	s_waitcnt lgkmcnt(0)
	v_add_f32_e32 v4, v3, v4
	v_cndmask_b32_e32 v4, v3, v4, vcc
	v_lshlrev_b32_e32 v3, 2, v2
	v_or_b32_e32 v5, 0x80, v3
	ds_bpermute_b32 v5, v5, v4
	v_cmp_lt_u32_e32 vcc, v8, v7
	s_waitcnt lgkmcnt(0)
	v_add_f32_e32 v5, v4, v5
	v_cndmask_b32_e32 v4, v4, v5, vcc
	v_cmp_eq_u32_e32 vcc, 0, v2
	s_and_saveexec_b64 s[2:3], vcc
; %bb.7:
	v_lshrrev_b32_e32 v5, 4, v0
	v_and_b32_e32 v5, 60, v5
	ds_write_b32 v5, v4
; %bb.8:
	s_or_b64 exec, exec, s[2:3]
	v_cmp_gt_u32_e32 vcc, 16, v0
	s_waitcnt vmcnt(0) lgkmcnt(0)
	s_barrier
	s_and_saveexec_b64 s[6:7], vcc
	s_cbranch_execz .LBB13_10
; %bb.9:
	ds_read_b32 v4, v3
	v_and_b32_e32 v5, 15, v2
	v_cmp_ne_u32_e32 vcc, 15, v5
	v_addc_co_u32_e32 v7, vcc, 0, v2, vcc
	v_lshlrev_b32_e32 v7, 2, v7
	s_waitcnt lgkmcnt(0)
	ds_bpermute_b32 v7, v7, v4
	v_add_u32_e32 v8, 63, v6
	v_lshrrev_b32_e32 v8, 6, v8
	v_add_u32_e32 v9, 1, v5
	v_cmp_gt_u32_e64 s[2:3], 14, v5
	s_waitcnt lgkmcnt(0)
	v_add_f32_e32 v7, v4, v7
	v_cmp_lt_u32_e32 vcc, v9, v8
	v_cndmask_b32_e64 v9, 0, 2, s[2:3]
	v_cndmask_b32_e32 v7, v4, v7, vcc
	v_add_lshl_u32 v9, v9, v2, 2
	ds_bpermute_b32 v9, v9, v7
	v_add_u32_e32 v10, 2, v5
	v_cmp_lt_u32_e64 s[2:3], v10, v8
	v_or_b32_e32 v3, 32, v3
	s_waitcnt lgkmcnt(0)
	v_add_f32_e32 v9, v7, v9
	v_cndmask_b32_e64 v7, v7, v9, s[2:3]
	v_cmp_gt_u32_e64 s[2:3], 12, v5
	v_cndmask_b32_e64 v9, 0, 4, s[2:3]
	v_add_lshl_u32 v2, v9, v2, 2
	ds_bpermute_b32 v2, v2, v7
	v_add_u32_e32 v9, 4, v5
	v_cmp_lt_u32_e64 s[2:3], v9, v8
	v_add_u32_e32 v5, 8, v5
	s_waitcnt lgkmcnt(0)
	v_add_f32_e32 v2, v7, v2
	v_cndmask_b32_e64 v2, v7, v2, s[2:3]
	ds_bpermute_b32 v3, v3, v2
	v_cmp_lt_u32_e64 s[2:3], v5, v8
	s_waitcnt lgkmcnt(0)
	v_add_f32_e32 v3, v2, v3
	v_cndmask_b32_e64 v2, v2, v3, s[2:3]
	v_cndmask_b32_e32 v4, v4, v2, vcc
.LBB13_10:
	s_or_b64 exec, exec, s[6:7]
	v_cmp_eq_u32_e32 vcc, 0, v0
	s_and_saveexec_b64 s[2:3], vcc
	s_cbranch_execz .LBB13_12
; %bb.11:
	v_cvt_f32_i32_e32 v2, s20
	s_load_dword s4, s[4:5], 0x30
	s_mov_b32 s5, 0x800000
	v_div_scale_f32 v3, s[6:7], v2, v2, v4
	v_div_scale_f32 v5, vcc, v4, v2, v4
	v_rcp_f32_e32 v7, v3
	v_fma_f32 v8, -v3, v7, 1.0
	v_fmac_f32_e32 v7, v8, v7
	v_mul_f32_e32 v8, v5, v7
	v_fma_f32 v9, -v3, v8, v5
	v_fmac_f32_e32 v8, v9, v7
	v_fma_f32 v3, -v3, v8, v5
	v_div_fmas_f32 v3, v3, v7, v8
	v_div_fixup_f32 v2, v3, v2, v4
	s_waitcnt lgkmcnt(0)
	v_add_f32_e32 v2, s4, v2
	v_mul_f32_e32 v3, 0x4b800000, v2
	v_cmp_gt_f32_e32 vcc, s5, v2
	v_cndmask_b32_e32 v2, v2, v3, vcc
	v_rsq_f32_e32 v2, v2
	v_mul_f32_e32 v3, 0x45800000, v2
	v_cndmask_b32_e32 v2, v2, v3, vcc
	v_mov_b32_e32 v3, 0
	ds_write_b32 v3, v2 offset:64
.LBB13_12:
	s_or_b64 exec, exec, s[2:3]
	s_waitcnt lgkmcnt(0)
	s_barrier
	s_and_saveexec_b64 s[2:3], s[0:1]
	s_cbranch_execz .LBB13_27
; %bb.13:
	s_load_dword s10, s[10:11], 0x0
	s_mov_b64 s[2:3], 0
	v_mov_b32_e32 v8, s13
	v_mov_b32_e32 v9, s9
	s_mov_b64 s[4:5], 0x7f800000
	s_waitcnt lgkmcnt(0)
	v_div_scale_f32 v2, s[0:1], s10, s10, 1.0
	v_div_scale_f32 v3, vcc, 1.0, s10, 1.0
	s_mov_b64 s[6:7], 0x43700001
	s_movk_i32 s9, 0x78
	s_movk_i32 s13, 0x80
	;; [unrolled: 1-line block ×3, first 2 shown]
	v_mov_b32_e32 v11, 0x77
	v_mov_b32_e32 v13, 0xffffff8a
	v_rcp_f32_e32 v4, v2
	v_fma_f32 v5, -v2, v4, 1.0
	v_fmac_f32_e32 v4, v5, v4
	v_mul_f32_e32 v5, v3, v4
	v_fma_f32 v7, -v2, v5, v3
	v_fmac_f32_e32 v5, v7, v4
	v_fma_f32 v2, -v2, v5, v3
	v_div_fmas_f32 v2, v2, v4, v5
	v_mov_b32_e32 v3, 0
	ds_read_b32 v10, v3 offset:64
	v_mul_lo_u32 v7, s20, v1
	v_div_fixup_f32 v12, v2, s10, 1.0
	s_branch .LBB13_16
.LBB13_14:                              ;   in Loop: Header=BB13_16 Depth=1
	s_or_b64 exec, exec, s[0:1]
.LBB13_15:                              ;   in Loop: Header=BB13_16 Depth=1
	s_or_b64 exec, exec, s[10:11]
	v_mov_b32_e32 v5, s15
	v_add_co_u32_e32 v1, vcc, s14, v2
	v_addc_co_u32_e32 v2, vcc, 0, v5, vcc
	v_add_u32_e32 v0, v0, v6
	v_cmp_le_i32_e32 vcc, s20, v0
	s_or_b64 s[2:3], vcc, s[2:3]
	global_store_byte v[1:2], v4, off
	s_andn2_b64 exec, exec, s[2:3]
	s_cbranch_execz .LBB13_27
.LBB13_16:                              ; =>This Inner Loop Header: Depth=1
	v_add_u32_e32 v2, v7, v0
	v_lshlrev_b64 v[4:5], 2, v[2:3]
	v_ashrrev_i32_e32 v1, 31, v0
	v_add_co_u32_e32 v4, vcc, s12, v4
	v_addc_co_u32_e32 v5, vcc, v8, v5, vcc
	global_load_dword v14, v[4:5], off
	v_lshlrev_b64 v[4:5], 2, v[0:1]
	v_add_co_u32_e32 v4, vcc, s8, v4
	v_addc_co_u32_e32 v5, vcc, v9, v5, vcc
	global_load_dword v1, v[4:5], off
	v_mov_b32_e32 v5, v3
	s_waitcnt vmcnt(1) lgkmcnt(0)
	v_mul_f32_e32 v4, v14, v10
	s_waitcnt vmcnt(0)
	v_mul_f32_e32 v1, v4, v1
	v_mul_f32_e32 v1, v12, v1
	v_min_f32_e32 v1, 0x43600000, v1
	v_max_f32_e32 v1, 0xc3600000, v1
	v_and_b32_e32 v4, 0x7f800000, v1
	v_cmp_ne_u64_e32 vcc, s[4:5], v[4:5]
	v_mov_b32_e32 v4, 0x80
	s_and_saveexec_b64 s[10:11], vcc
	s_cbranch_execz .LBB13_15
; %bb.17:                               ;   in Loop: Header=BB13_16 Depth=1
	v_and_b32_e32 v4, 0x7fffffff, v1
	v_mov_b32_e32 v5, v3
	v_cmp_gt_u64_e32 vcc, s[6:7], v[4:5]
                                        ; implicit-def: $vgpr4
	s_and_saveexec_b64 s[0:1], vcc
	s_xor_b64 s[16:17], exec, s[0:1]
	s_cbranch_execz .LBB13_25
; %bb.18:                               ;   in Loop: Header=BB13_16 Depth=1
	v_cmp_ne_u32_e32 vcc, 0, v1
	v_mov_b32_e32 v4, 0
	s_and_saveexec_b64 s[18:19], vcc
	s_cbranch_execz .LBB13_24
; %bb.19:                               ;   in Loop: Header=BB13_16 Depth=1
	v_bfe_u32 v18, v1, 23, 8
	v_sub_u32_e64 v5, s9, v18 clamp
	v_cmp_eq_u32_e32 vcc, 0, v18
	v_and_b32_e32 v4, 0x7fffff, v1
	v_cndmask_b32_e32 v19, v5, v11, vcc
	v_or_b32_e32 v14, 0x800000, v4
	v_add_u32_e32 v5, 20, v19
	v_cndmask_b32_e32 v4, v14, v4, vcc
	v_lshlrev_b64 v[14:15], v5, -1
	v_mov_b32_e32 v5, v3
	v_add_u32_e32 v16, 19, v19
	v_lshlrev_b64 v[16:17], v16, 1
	v_bfi_b32 v14, v14, 0, v4
	v_lshrrev_b64 v[4:5], v19, v[4:5]
	v_bfi_b32 v15, v15, 0, 0
	v_cmp_eq_u64_e64 s[0:1], v[14:15], v[16:17]
	v_add_u32_e32 v5, 0xffffff89, v18
	v_and_b32_e32 v16, 0x100000, v4
	v_mov_b32_e32 v17, v3
	v_cndmask_b32_e32 v5, v5, v13, vcc
	v_cmp_eq_u64_e32 vcc, 0, v[16:17]
	v_lshrrev_b32_e32 v14, 23, v4
	s_and_b64 vcc, vcc, s[0:1]
	v_add3_u32 v15, v5, v19, v14
	v_subbrev_co_u32_e32 v5, vcc, 0, v4, vcc
	v_add_u32_e32 v16, -1, v15
	v_and_b32_e32 v5, 0xfffff, v5
	v_add_u32_e32 v4, v5, v4
	v_mov_b32_e32 v5, v3
	v_cmp_ne_u32_e32 vcc, 0, v16
                                        ; implicit-def: $vgpr14
	s_and_saveexec_b64 s[0:1], vcc
	s_xor_b64 s[0:1], exec, s[0:1]
; %bb.20:                               ;   in Loop: Header=BB13_16 Depth=1
	v_and_b32_e32 v17, 0x1000000, v4
	v_mov_b32_e32 v18, v3
	v_cmp_eq_u64_e32 vcc, 0, v[17:18]
	v_bfe_u32 v14, v4, 24, 1
	v_lshrrev_b64 v[4:5], v14, v[4:5]
	v_cndmask_b32_e32 v14, v15, v16, vcc
; %bb.21:                               ;   in Loop: Header=BB13_16 Depth=1
	s_andn2_saveexec_b64 s[0:1], s[0:1]
; %bb.22:                               ;   in Loop: Header=BB13_16 Depth=1
	v_bfe_u32 v14, v4, 23, 1
; %bb.23:                               ;   in Loop: Header=BB13_16 Depth=1
	s_or_b64 exec, exec, s[0:1]
	v_lshrrev_b64 v[4:5], 20, v[4:5]
	v_cmp_gt_i32_e32 vcc, 16, v14
	v_cndmask_b32_e32 v5, 0, v5, vcc
	v_cndmask_b32_e32 v4, 7, v4, vcc
	v_and_b32_sdwa v1, v1, s13 dst_sel:DWORD dst_unused:UNUSED_PAD src0_sel:BYTE_3 src1_sel:DWORD
	v_min_i32_e32 v15, 15, v14
	v_cmp_eq_u64_e64 s[0:1], 0, v[4:5]
	v_cmp_eq_u32_e32 vcc, 0, v14
	v_lshl_or_b32 v1, v15, 3, v1
	v_and_or_b32 v1, v4, 7, v1
	s_and_b64 s[0:1], vcc, s[0:1]
	v_cndmask_b32_e64 v4, v1, 0, s[0:1]
.LBB13_24:                              ;   in Loop: Header=BB13_16 Depth=1
	s_or_b64 exec, exec, s[18:19]
                                        ; implicit-def: $vgpr1
.LBB13_25:                              ;   in Loop: Header=BB13_16 Depth=1
	s_andn2_saveexec_b64 s[0:1], s[16:17]
	s_cbranch_execz .LBB13_14
; %bb.26:                               ;   in Loop: Header=BB13_16 Depth=1
	v_or_b32_sdwa v4, v1, s21 dst_sel:DWORD dst_unused:UNUSED_PAD src0_sel:BYTE_3 src1_sel:DWORD
	s_branch .LBB13_14
.LBB13_27:
	s_endpgm
	.section	.rodata,"a",@progbits
	.p2align	6, 0x0
	.amdhsa_kernel _ZN4vllm42fused_add_rms_norm_static_fp8_quant_kernelIfLi0EN3c1015Float8_e4m3fnuzEEENSt9enable_ifIXooeqT0_Li0Entsr12_typeConvertIT_EE6existsEvE4typeEPT1_PS4_iS9_PKS4_PKffii
		.amdhsa_group_segment_fixed_size 68
		.amdhsa_private_segment_fixed_size 0
		.amdhsa_kernarg_size 320
		.amdhsa_user_sgpr_count 6
		.amdhsa_user_sgpr_private_segment_buffer 1
		.amdhsa_user_sgpr_dispatch_ptr 0
		.amdhsa_user_sgpr_queue_ptr 0
		.amdhsa_user_sgpr_kernarg_segment_ptr 1
		.amdhsa_user_sgpr_dispatch_id 0
		.amdhsa_user_sgpr_flat_scratch_init 0
		.amdhsa_user_sgpr_private_segment_size 0
		.amdhsa_uses_dynamic_stack 0
		.amdhsa_system_sgpr_private_segment_wavefront_offset 0
		.amdhsa_system_sgpr_workgroup_id_x 1
		.amdhsa_system_sgpr_workgroup_id_y 0
		.amdhsa_system_sgpr_workgroup_id_z 0
		.amdhsa_system_sgpr_workgroup_info 0
		.amdhsa_system_vgpr_workitem_id 0
		.amdhsa_next_free_vgpr 20
		.amdhsa_next_free_sgpr 23
		.amdhsa_reserve_vcc 1
		.amdhsa_reserve_flat_scratch 0
		.amdhsa_float_round_mode_32 0
		.amdhsa_float_round_mode_16_64 0
		.amdhsa_float_denorm_mode_32 3
		.amdhsa_float_denorm_mode_16_64 3
		.amdhsa_dx10_clamp 1
		.amdhsa_ieee_mode 1
		.amdhsa_fp16_overflow 0
		.amdhsa_exception_fp_ieee_invalid_op 0
		.amdhsa_exception_fp_denorm_src 0
		.amdhsa_exception_fp_ieee_div_zero 0
		.amdhsa_exception_fp_ieee_overflow 0
		.amdhsa_exception_fp_ieee_underflow 0
		.amdhsa_exception_fp_ieee_inexact 0
		.amdhsa_exception_int_div_zero 0
	.end_amdhsa_kernel
	.section	.text._ZN4vllm42fused_add_rms_norm_static_fp8_quant_kernelIfLi0EN3c1015Float8_e4m3fnuzEEENSt9enable_ifIXooeqT0_Li0Entsr12_typeConvertIT_EE6existsEvE4typeEPT1_PS4_iS9_PKS4_PKffii,"axG",@progbits,_ZN4vllm42fused_add_rms_norm_static_fp8_quant_kernelIfLi0EN3c1015Float8_e4m3fnuzEEENSt9enable_ifIXooeqT0_Li0Entsr12_typeConvertIT_EE6existsEvE4typeEPT1_PS4_iS9_PKS4_PKffii,comdat
.Lfunc_end13:
	.size	_ZN4vllm42fused_add_rms_norm_static_fp8_quant_kernelIfLi0EN3c1015Float8_e4m3fnuzEEENSt9enable_ifIXooeqT0_Li0Entsr12_typeConvertIT_EE6existsEvE4typeEPT1_PS4_iS9_PKS4_PKffii, .Lfunc_end13-_ZN4vllm42fused_add_rms_norm_static_fp8_quant_kernelIfLi0EN3c1015Float8_e4m3fnuzEEENSt9enable_ifIXooeqT0_Li0Entsr12_typeConvertIT_EE6existsEvE4typeEPT1_PS4_iS9_PKS4_PKffii
                                        ; -- End function
	.set _ZN4vllm42fused_add_rms_norm_static_fp8_quant_kernelIfLi0EN3c1015Float8_e4m3fnuzEEENSt9enable_ifIXooeqT0_Li0Entsr12_typeConvertIT_EE6existsEvE4typeEPT1_PS4_iS9_PKS4_PKffii.num_vgpr, 20
	.set _ZN4vllm42fused_add_rms_norm_static_fp8_quant_kernelIfLi0EN3c1015Float8_e4m3fnuzEEENSt9enable_ifIXooeqT0_Li0Entsr12_typeConvertIT_EE6existsEvE4typeEPT1_PS4_iS9_PKS4_PKffii.num_agpr, 0
	.set _ZN4vllm42fused_add_rms_norm_static_fp8_quant_kernelIfLi0EN3c1015Float8_e4m3fnuzEEENSt9enable_ifIXooeqT0_Li0Entsr12_typeConvertIT_EE6existsEvE4typeEPT1_PS4_iS9_PKS4_PKffii.numbered_sgpr, 23
	.set _ZN4vllm42fused_add_rms_norm_static_fp8_quant_kernelIfLi0EN3c1015Float8_e4m3fnuzEEENSt9enable_ifIXooeqT0_Li0Entsr12_typeConvertIT_EE6existsEvE4typeEPT1_PS4_iS9_PKS4_PKffii.num_named_barrier, 0
	.set _ZN4vllm42fused_add_rms_norm_static_fp8_quant_kernelIfLi0EN3c1015Float8_e4m3fnuzEEENSt9enable_ifIXooeqT0_Li0Entsr12_typeConvertIT_EE6existsEvE4typeEPT1_PS4_iS9_PKS4_PKffii.private_seg_size, 0
	.set _ZN4vllm42fused_add_rms_norm_static_fp8_quant_kernelIfLi0EN3c1015Float8_e4m3fnuzEEENSt9enable_ifIXooeqT0_Li0Entsr12_typeConvertIT_EE6existsEvE4typeEPT1_PS4_iS9_PKS4_PKffii.uses_vcc, 1
	.set _ZN4vllm42fused_add_rms_norm_static_fp8_quant_kernelIfLi0EN3c1015Float8_e4m3fnuzEEENSt9enable_ifIXooeqT0_Li0Entsr12_typeConvertIT_EE6existsEvE4typeEPT1_PS4_iS9_PKS4_PKffii.uses_flat_scratch, 0
	.set _ZN4vllm42fused_add_rms_norm_static_fp8_quant_kernelIfLi0EN3c1015Float8_e4m3fnuzEEENSt9enable_ifIXooeqT0_Li0Entsr12_typeConvertIT_EE6existsEvE4typeEPT1_PS4_iS9_PKS4_PKffii.has_dyn_sized_stack, 0
	.set _ZN4vllm42fused_add_rms_norm_static_fp8_quant_kernelIfLi0EN3c1015Float8_e4m3fnuzEEENSt9enable_ifIXooeqT0_Li0Entsr12_typeConvertIT_EE6existsEvE4typeEPT1_PS4_iS9_PKS4_PKffii.has_recursion, 0
	.set _ZN4vllm42fused_add_rms_norm_static_fp8_quant_kernelIfLi0EN3c1015Float8_e4m3fnuzEEENSt9enable_ifIXooeqT0_Li0Entsr12_typeConvertIT_EE6existsEvE4typeEPT1_PS4_iS9_PKS4_PKffii.has_indirect_call, 0
	.section	.AMDGPU.csdata,"",@progbits
; Kernel info:
; codeLenInByte = 1764
; TotalNumSgprs: 27
; NumVgprs: 20
; ScratchSize: 0
; MemoryBound: 0
; FloatMode: 240
; IeeeMode: 1
; LDSByteSize: 68 bytes/workgroup (compile time only)
; SGPRBlocks: 3
; VGPRBlocks: 4
; NumSGPRsForWavesPerEU: 27
; NumVGPRsForWavesPerEU: 20
; Occupancy: 10
; WaveLimiterHint : 0
; COMPUTE_PGM_RSRC2:SCRATCH_EN: 0
; COMPUTE_PGM_RSRC2:USER_SGPR: 6
; COMPUTE_PGM_RSRC2:TRAP_HANDLER: 0
; COMPUTE_PGM_RSRC2:TGID_X_EN: 1
; COMPUTE_PGM_RSRC2:TGID_Y_EN: 0
; COMPUTE_PGM_RSRC2:TGID_Z_EN: 0
; COMPUTE_PGM_RSRC2:TIDIG_COMP_CNT: 0
	.section	.text._ZN4vllm42fused_add_rms_norm_static_fp8_quant_kernelIN3c104HalfELi0ENS1_13Float8_e4m3fnEEENSt9enable_ifIXooeqT0_Li0Entsr12_typeConvertIT_EE6existsEvE4typeEPT1_PS5_iSA_PKS5_PKffii,"axG",@progbits,_ZN4vllm42fused_add_rms_norm_static_fp8_quant_kernelIN3c104HalfELi0ENS1_13Float8_e4m3fnEEENSt9enable_ifIXooeqT0_Li0Entsr12_typeConvertIT_EE6existsEvE4typeEPT1_PS5_iSA_PKS5_PKffii,comdat
	.protected	_ZN4vllm42fused_add_rms_norm_static_fp8_quant_kernelIN3c104HalfELi0ENS1_13Float8_e4m3fnEEENSt9enable_ifIXooeqT0_Li0Entsr12_typeConvertIT_EE6existsEvE4typeEPT1_PS5_iSA_PKS5_PKffii ; -- Begin function _ZN4vllm42fused_add_rms_norm_static_fp8_quant_kernelIN3c104HalfELi0ENS1_13Float8_e4m3fnEEENSt9enable_ifIXooeqT0_Li0Entsr12_typeConvertIT_EE6existsEvE4typeEPT1_PS5_iSA_PKS5_PKffii
	.globl	_ZN4vllm42fused_add_rms_norm_static_fp8_quant_kernelIN3c104HalfELi0ENS1_13Float8_e4m3fnEEENSt9enable_ifIXooeqT0_Li0Entsr12_typeConvertIT_EE6existsEvE4typeEPT1_PS5_iSA_PKS5_PKffii
	.p2align	8
	.type	_ZN4vllm42fused_add_rms_norm_static_fp8_quant_kernelIN3c104HalfELi0ENS1_13Float8_e4m3fnEEENSt9enable_ifIXooeqT0_Li0Entsr12_typeConvertIT_EE6existsEvE4typeEPT1_PS5_iSA_PKS5_PKffii,@function
_ZN4vllm42fused_add_rms_norm_static_fp8_quant_kernelIN3c104HalfELi0ENS1_13Float8_e4m3fnEEENSt9enable_ifIXooeqT0_Li0Entsr12_typeConvertIT_EE6existsEvE4typeEPT1_PS5_iSA_PKS5_PKffii: ; @_ZN4vllm42fused_add_rms_norm_static_fp8_quant_kernelIN3c104HalfELi0ENS1_13Float8_e4m3fnEEENSt9enable_ifIXooeqT0_Li0Entsr12_typeConvertIT_EE6existsEvE4typeEPT1_PS5_iSA_PKS5_PKffii
; %bb.0:
	s_load_dword s20, s[4:5], 0x38
	s_load_dwordx2 s[12:13], s[4:5], 0x18
                                        ; implicit-def: $sgpr7
	s_waitcnt lgkmcnt(0)
	v_cmp_gt_i32_e64 s[0:1], s20, v0
	v_cmp_le_i32_e32 vcc, s20, v0
	s_and_saveexec_b64 s[2:3], vcc
	s_xor_b64 s[2:3], exec, s[2:3]
	s_cbranch_execz .LBB14_2
; %bb.1:
	s_load_dword s7, s[4:5], 0x4c
	s_waitcnt lgkmcnt(0)
	s_and_b32 s7, s7, 0xffff
.LBB14_2:
	s_or_saveexec_b64 s[2:3], s[2:3]
	s_load_dwordx2 s[14:15], s[4:5], 0x0
	s_load_dwordx4 s[8:11], s[4:5], 0x20
	v_mov_b32_e32 v3, 0
	v_mov_b32_e32 v1, s6
	;; [unrolled: 1-line block ×3, first 2 shown]
	s_xor_b64 exec, exec, s[2:3]
	s_cbranch_execz .LBB14_6
; %bb.3:
	s_load_dword s22, s[4:5], 0x10
	s_load_dword s7, s[4:5], 0x4c
	s_load_dwordx2 s[16:17], s[4:5], 0x8
	s_mul_i32 s21, s20, s6
	v_mov_b32_e32 v2, 0
	s_waitcnt lgkmcnt(0)
	s_mul_i32 s22, s22, s6
	s_and_b32 s7, s7, 0xffff
	s_mov_b64 s[18:19], 0
	v_mov_b32_e32 v4, s17
	v_mov_b32_e32 v5, s13
	;; [unrolled: 1-line block ×4, first 2 shown]
.LBB14_4:                               ; =>This Inner Loop Header: Depth=1
	v_add_u32_e32 v1, s22, v6
	v_lshlrev_b64 v[7:8], 1, v[1:2]
	v_add_u32_e32 v1, s21, v6
	v_lshlrev_b64 v[9:10], 1, v[1:2]
	v_add_co_u32_e32 v7, vcc, s16, v7
	v_addc_co_u32_e32 v8, vcc, v4, v8, vcc
	global_load_ushort v1, v[7:8], off
	v_add_co_u32_e32 v7, vcc, s12, v9
	v_addc_co_u32_e32 v8, vcc, v5, v10, vcc
	global_load_ushort v9, v[7:8], off
	v_add_u32_e32 v6, s7, v6
	v_cmp_le_i32_e32 vcc, s20, v6
	s_or_b64 s[18:19], vcc, s[18:19]
	s_waitcnt vmcnt(0)
	v_add_f16_e32 v1, v1, v9
	v_fma_mix_f32 v3, v1, v1, v3 op_sel_hi:[1,1,0]
	global_store_short v[7:8], v1, off
	s_andn2_b64 exec, exec, s[18:19]
	s_cbranch_execnz .LBB14_4
; %bb.5:
	s_or_b64 exec, exec, s[18:19]
	v_mov_b32_e32 v1, s6
	v_mov_b32_e32 v6, s7
.LBB14_6:
	s_or_b64 exec, exec, s[2:3]
	v_mbcnt_lo_u32_b32 v2, -1, 0
	v_mbcnt_hi_u32_b32 v2, -1, v2
	v_and_b32_e32 v4, 63, v2
	v_cmp_ne_u32_e32 vcc, 63, v4
	v_addc_co_u32_e32 v5, vcc, 0, v2, vcc
	v_lshlrev_b32_e32 v5, 2, v5
	ds_bpermute_b32 v5, v5, v3
	v_and_b32_e32 v7, 0x3c0, v0
	v_sub_u32_e64 v7, v6, v7 clamp
	v_add_u32_e32 v8, 1, v2
	v_cmp_lt_u32_e32 vcc, v8, v7
	s_waitcnt lgkmcnt(0)
	v_add_f32_e32 v5, v3, v5
	v_cndmask_b32_e32 v3, v3, v5, vcc
	v_cmp_gt_u32_e32 vcc, 62, v4
	v_cndmask_b32_e64 v5, 0, 2, vcc
	v_add_lshl_u32 v5, v5, v2, 2
	ds_bpermute_b32 v5, v5, v3
	v_add_u32_e32 v8, 2, v2
	v_cmp_lt_u32_e32 vcc, v8, v7
	v_add_u32_e32 v8, 4, v2
	s_waitcnt lgkmcnt(0)
	v_add_f32_e32 v5, v3, v5
	v_cndmask_b32_e32 v3, v3, v5, vcc
	v_cmp_gt_u32_e32 vcc, 60, v4
	v_cndmask_b32_e64 v5, 0, 4, vcc
	v_add_lshl_u32 v5, v5, v2, 2
	ds_bpermute_b32 v5, v5, v3
	v_cmp_lt_u32_e32 vcc, v8, v7
	v_add_u32_e32 v8, 8, v2
	s_waitcnt lgkmcnt(0)
	v_add_f32_e32 v5, v3, v5
	v_cndmask_b32_e32 v3, v3, v5, vcc
	v_cmp_gt_u32_e32 vcc, 56, v4
	v_cndmask_b32_e64 v5, 0, 8, vcc
	v_add_lshl_u32 v5, v5, v2, 2
	ds_bpermute_b32 v5, v5, v3
	;; [unrolled: 9-line block ×3, first 2 shown]
	v_add_u32_e32 v5, 16, v2
	v_cmp_lt_u32_e32 vcc, v5, v7
	s_waitcnt lgkmcnt(0)
	v_add_f32_e32 v4, v3, v4
	v_cndmask_b32_e32 v4, v3, v4, vcc
	v_lshlrev_b32_e32 v3, 2, v2
	v_or_b32_e32 v5, 0x80, v3
	ds_bpermute_b32 v5, v5, v4
	v_cmp_lt_u32_e32 vcc, v8, v7
	s_waitcnt lgkmcnt(0)
	v_add_f32_e32 v5, v4, v5
	v_cndmask_b32_e32 v4, v4, v5, vcc
	v_cmp_eq_u32_e32 vcc, 0, v2
	s_and_saveexec_b64 s[2:3], vcc
; %bb.7:
	v_lshrrev_b32_e32 v5, 4, v0
	v_and_b32_e32 v5, 60, v5
	ds_write_b32 v5, v4
; %bb.8:
	s_or_b64 exec, exec, s[2:3]
	v_cmp_gt_u32_e32 vcc, 16, v0
	s_waitcnt vmcnt(0) lgkmcnt(0)
	s_barrier
	s_and_saveexec_b64 s[6:7], vcc
	s_cbranch_execz .LBB14_10
; %bb.9:
	ds_read_b32 v4, v3
	v_and_b32_e32 v5, 15, v2
	v_cmp_ne_u32_e32 vcc, 15, v5
	v_addc_co_u32_e32 v7, vcc, 0, v2, vcc
	v_lshlrev_b32_e32 v7, 2, v7
	s_waitcnt lgkmcnt(0)
	ds_bpermute_b32 v7, v7, v4
	v_add_u32_e32 v8, 63, v6
	v_lshrrev_b32_e32 v8, 6, v8
	v_add_u32_e32 v9, 1, v5
	v_cmp_gt_u32_e64 s[2:3], 14, v5
	s_waitcnt lgkmcnt(0)
	v_add_f32_e32 v7, v4, v7
	v_cmp_lt_u32_e32 vcc, v9, v8
	v_cndmask_b32_e64 v9, 0, 2, s[2:3]
	v_cndmask_b32_e32 v7, v4, v7, vcc
	v_add_lshl_u32 v9, v9, v2, 2
	ds_bpermute_b32 v9, v9, v7
	v_add_u32_e32 v10, 2, v5
	v_cmp_lt_u32_e64 s[2:3], v10, v8
	v_or_b32_e32 v3, 32, v3
	s_waitcnt lgkmcnt(0)
	v_add_f32_e32 v9, v7, v9
	v_cndmask_b32_e64 v7, v7, v9, s[2:3]
	v_cmp_gt_u32_e64 s[2:3], 12, v5
	v_cndmask_b32_e64 v9, 0, 4, s[2:3]
	v_add_lshl_u32 v2, v9, v2, 2
	ds_bpermute_b32 v2, v2, v7
	v_add_u32_e32 v9, 4, v5
	v_cmp_lt_u32_e64 s[2:3], v9, v8
	v_add_u32_e32 v5, 8, v5
	s_waitcnt lgkmcnt(0)
	v_add_f32_e32 v2, v7, v2
	v_cndmask_b32_e64 v2, v7, v2, s[2:3]
	ds_bpermute_b32 v3, v3, v2
	v_cmp_lt_u32_e64 s[2:3], v5, v8
	s_waitcnt lgkmcnt(0)
	v_add_f32_e32 v3, v2, v3
	v_cndmask_b32_e64 v2, v2, v3, s[2:3]
	v_cndmask_b32_e32 v4, v4, v2, vcc
.LBB14_10:
	s_or_b64 exec, exec, s[6:7]
	v_cmp_eq_u32_e32 vcc, 0, v0
	s_and_saveexec_b64 s[2:3], vcc
	s_cbranch_execz .LBB14_12
; %bb.11:
	v_cvt_f32_i32_e32 v2, s20
	s_load_dword s4, s[4:5], 0x30
	s_mov_b32 s5, 0x800000
	v_div_scale_f32 v3, s[6:7], v2, v2, v4
	v_div_scale_f32 v5, vcc, v4, v2, v4
	v_rcp_f32_e32 v7, v3
	v_fma_f32 v8, -v3, v7, 1.0
	v_fmac_f32_e32 v7, v8, v7
	v_mul_f32_e32 v8, v5, v7
	v_fma_f32 v9, -v3, v8, v5
	v_fmac_f32_e32 v8, v9, v7
	v_fma_f32 v3, -v3, v8, v5
	v_div_fmas_f32 v3, v3, v7, v8
	v_div_fixup_f32 v2, v3, v2, v4
	s_waitcnt lgkmcnt(0)
	v_add_f32_e32 v2, s4, v2
	v_mul_f32_e32 v3, 0x4b800000, v2
	v_cmp_gt_f32_e32 vcc, s5, v2
	v_cndmask_b32_e32 v2, v2, v3, vcc
	v_rsq_f32_e32 v2, v2
	v_mul_f32_e32 v3, 0x45800000, v2
	v_cndmask_b32_e32 v2, v2, v3, vcc
	v_mov_b32_e32 v3, 0
	ds_write_b32 v3, v2 offset:64
.LBB14_12:
	s_or_b64 exec, exec, s[2:3]
	s_waitcnt lgkmcnt(0)
	s_barrier
	s_and_saveexec_b64 s[2:3], s[0:1]
	s_cbranch_execz .LBB14_33
; %bb.13:
	s_load_dword s10, s[10:11], 0x0
	s_mov_b64 s[2:3], 0
	v_mov_b32_e32 v8, s13
	v_mov_b32_e32 v9, s9
	s_mov_b64 s[4:5], 0x7f800000
	s_waitcnt lgkmcnt(0)
	v_div_scale_f32 v2, s[0:1], s10, s10, 1.0
	v_div_scale_f32 v3, vcc, 1.0, s10, 1.0
	s_movk_i32 s9, 0x80
	s_mov_b64 s[6:7], 0x43e00001
	s_movk_i32 s13, 0x79
	s_movk_i32 s21, 0x7f
	v_mov_b32_e32 v11, 0x78
	v_mov_b32_e32 v13, 0xffffff89
	v_rcp_f32_e32 v4, v2
	v_fma_f32 v5, -v2, v4, 1.0
	v_fmac_f32_e32 v4, v5, v4
	v_mul_f32_e32 v5, v3, v4
	v_fma_f32 v7, -v2, v5, v3
	v_fmac_f32_e32 v5, v7, v4
	v_fma_f32 v2, -v2, v5, v3
	v_div_fmas_f32 v2, v2, v4, v5
	v_mov_b32_e32 v3, 0
	ds_read_b32 v10, v3 offset:64
	v_mul_lo_u32 v7, s20, v1
	v_div_fixup_f32 v12, v2, s10, 1.0
	s_branch .LBB14_15
.LBB14_14:                              ;   in Loop: Header=BB14_15 Depth=1
	s_or_b64 exec, exec, s[0:1]
	v_mov_b32_e32 v4, s15
	v_add_co_u32_e32 v1, vcc, s14, v2
	v_addc_co_u32_e32 v2, vcc, 0, v4, vcc
	v_add_u32_e32 v0, v0, v6
	v_cmp_le_i32_e32 vcc, s20, v0
	s_or_b64 s[2:3], vcc, s[2:3]
	global_store_byte v[1:2], v5, off
	s_andn2_b64 exec, exec, s[2:3]
	s_cbranch_execz .LBB14_33
.LBB14_15:                              ; =>This Inner Loop Header: Depth=1
	v_add_u32_e32 v2, v7, v0
	v_lshlrev_b64 v[4:5], 1, v[2:3]
	v_ashrrev_i32_e32 v1, 31, v0
	v_add_co_u32_e32 v4, vcc, s12, v4
	v_addc_co_u32_e32 v5, vcc, v8, v5, vcc
	global_load_ushort v14, v[4:5], off
	v_lshlrev_b64 v[4:5], 1, v[0:1]
	v_mov_b32_e32 v15, v3
	v_add_co_u32_e32 v4, vcc, s8, v4
	v_addc_co_u32_e32 v5, vcc, v9, v5, vcc
	global_load_ushort v1, v[4:5], off
                                        ; implicit-def: $vgpr5
	s_waitcnt vmcnt(1) lgkmcnt(0)
	v_fma_mixlo_f16 v4, v10, v14, 0 op_sel_hi:[0,1,0]
	s_waitcnt vmcnt(0)
	v_mul_f16_e32 v1, v1, v4
	v_cvt_f32_f16_e32 v1, v1
	v_mul_f32_e32 v1, v12, v1
	v_min_f32_e32 v1, 0x43e00000, v1
	v_max_f32_e32 v4, 0xc3e00000, v1
	v_and_b32_e32 v14, 0x7f800000, v4
	v_cmp_ne_u64_e32 vcc, s[4:5], v[14:15]
	s_and_saveexec_b64 s[0:1], vcc
	s_xor_b64 s[10:11], exec, s[0:1]
	s_cbranch_execz .LBB14_31
; %bb.16:                               ;   in Loop: Header=BB14_15 Depth=1
	v_and_b32_e32 v14, 0x7fffffff, v4
	v_mov_b32_e32 v15, v3
	v_cmp_gt_u64_e32 vcc, s[6:7], v[14:15]
	v_and_b32_sdwa v1, v4, s9 dst_sel:DWORD dst_unused:UNUSED_PAD src0_sel:BYTE_3 src1_sel:DWORD
                                        ; implicit-def: $vgpr5
	s_and_saveexec_b64 s[0:1], vcc
	s_xor_b64 s[16:17], exec, s[0:1]
	s_cbranch_execz .LBB14_28
; %bb.17:                               ;   in Loop: Header=BB14_15 Depth=1
	v_cmp_ne_u32_e32 vcc, 0, v4
	v_mov_b32_e32 v5, 0
	s_and_saveexec_b64 s[18:19], vcc
	s_cbranch_execz .LBB14_27
; %bb.18:                               ;   in Loop: Header=BB14_15 Depth=1
	v_bfe_u32 v18, v4, 23, 8
	v_and_b32_e32 v5, 0x7fffff, v4
	v_sub_u32_e64 v4, s13, v18 clamp
	v_cmp_eq_u32_e32 vcc, 0, v18
	v_or_b32_e32 v14, 0x800000, v5
	v_cndmask_b32_e32 v19, v4, v11, vcc
	v_cndmask_b32_e32 v4, v14, v5, vcc
	v_add_u32_e32 v5, 20, v19
	v_lshlrev_b64 v[14:15], v5, -1
	v_mov_b32_e32 v5, v3
	v_add_u32_e32 v16, 19, v19
	v_lshlrev_b64 v[16:17], v16, 1
	v_bfi_b32 v14, v14, 0, v4
	v_lshrrev_b64 v[4:5], v19, v[4:5]
	v_bfi_b32 v15, v15, 0, 0
	v_cmp_eq_u64_e64 s[0:1], v[14:15], v[16:17]
	v_add_u32_e32 v5, 0xffffff88, v18
	v_and_b32_e32 v16, 0x100000, v4
	v_mov_b32_e32 v17, v3
	v_cndmask_b32_e32 v5, v5, v13, vcc
	v_cmp_eq_u64_e32 vcc, 0, v[16:17]
	v_lshrrev_b32_e32 v14, 23, v4
	s_and_b64 vcc, vcc, s[0:1]
	v_add3_u32 v15, v5, v19, v14
	v_subbrev_co_u32_e32 v5, vcc, 0, v4, vcc
	v_add_u32_e32 v16, -1, v15
	v_and_b32_e32 v5, 0xfffff, v5
	v_add_u32_e32 v4, v5, v4
	v_mov_b32_e32 v5, v3
	v_cmp_ne_u32_e32 vcc, 0, v16
                                        ; implicit-def: $vgpr14
	s_and_saveexec_b64 s[0:1], vcc
	s_xor_b64 s[0:1], exec, s[0:1]
; %bb.19:                               ;   in Loop: Header=BB14_15 Depth=1
	v_and_b32_e32 v17, 0x1000000, v4
	v_mov_b32_e32 v18, v3
	v_cmp_eq_u64_e32 vcc, 0, v[17:18]
	v_bfe_u32 v14, v4, 24, 1
	v_lshrrev_b64 v[4:5], v14, v[4:5]
	v_cndmask_b32_e32 v14, v15, v16, vcc
; %bb.20:                               ;   in Loop: Header=BB14_15 Depth=1
	s_andn2_saveexec_b64 s[0:1], s[0:1]
; %bb.21:                               ;   in Loop: Header=BB14_15 Depth=1
	v_bfe_u32 v14, v4, 23, 1
; %bb.22:                               ;   in Loop: Header=BB14_15 Depth=1
	s_or_b64 exec, exec, s[0:1]
	v_lshrrev_b64 v[4:5], 20, v[4:5]
	v_cmp_gt_i32_e32 vcc, 16, v14
	v_cndmask_b32_e32 v5, 0, v5, vcc
	v_cndmask_b32_e32 v4, 7, v4, vcc
	v_cmp_ne_u64_e32 vcc, 0, v[4:5]
	v_cmp_ne_u32_e64 s[0:1], 0, v14
	s_or_b64 s[0:1], s[0:1], vcc
                                        ; implicit-def: $vgpr5
	s_and_saveexec_b64 s[22:23], s[0:1]
	s_xor_b64 s[0:1], exec, s[22:23]
; %bb.23:                               ;   in Loop: Header=BB14_15 Depth=1
	v_min_i32_e32 v5, 15, v14
	v_lshl_or_b32 v1, v5, 3, v1
	v_and_or_b32 v5, v4, 7, v1
                                        ; implicit-def: $vgpr1
; %bb.24:                               ;   in Loop: Header=BB14_15 Depth=1
	s_andn2_saveexec_b64 s[0:1], s[0:1]
; %bb.25:                               ;   in Loop: Header=BB14_15 Depth=1
	v_mov_b32_e32 v5, v1
; %bb.26:                               ;   in Loop: Header=BB14_15 Depth=1
	s_or_b64 exec, exec, s[0:1]
.LBB14_27:                              ;   in Loop: Header=BB14_15 Depth=1
	s_or_b64 exec, exec, s[18:19]
                                        ; implicit-def: $vgpr1
.LBB14_28:                              ;   in Loop: Header=BB14_15 Depth=1
	s_andn2_saveexec_b64 s[0:1], s[16:17]
; %bb.29:                               ;   in Loop: Header=BB14_15 Depth=1
	v_or_b32_e32 v5, 0x7e, v1
; %bb.30:                               ;   in Loop: Header=BB14_15 Depth=1
	s_or_b64 exec, exec, s[0:1]
                                        ; implicit-def: $vgpr4
.LBB14_31:                              ;   in Loop: Header=BB14_15 Depth=1
	s_andn2_saveexec_b64 s[0:1], s[10:11]
	s_cbranch_execz .LBB14_14
; %bb.32:                               ;   in Loop: Header=BB14_15 Depth=1
	v_or_b32_sdwa v5, v4, s21 dst_sel:DWORD dst_unused:UNUSED_PAD src0_sel:BYTE_3 src1_sel:DWORD
	s_branch .LBB14_14
.LBB14_33:
	s_endpgm
	.section	.rodata,"a",@progbits
	.p2align	6, 0x0
	.amdhsa_kernel _ZN4vllm42fused_add_rms_norm_static_fp8_quant_kernelIN3c104HalfELi0ENS1_13Float8_e4m3fnEEENSt9enable_ifIXooeqT0_Li0Entsr12_typeConvertIT_EE6existsEvE4typeEPT1_PS5_iSA_PKS5_PKffii
		.amdhsa_group_segment_fixed_size 68
		.amdhsa_private_segment_fixed_size 0
		.amdhsa_kernarg_size 320
		.amdhsa_user_sgpr_count 6
		.amdhsa_user_sgpr_private_segment_buffer 1
		.amdhsa_user_sgpr_dispatch_ptr 0
		.amdhsa_user_sgpr_queue_ptr 0
		.amdhsa_user_sgpr_kernarg_segment_ptr 1
		.amdhsa_user_sgpr_dispatch_id 0
		.amdhsa_user_sgpr_flat_scratch_init 0
		.amdhsa_user_sgpr_private_segment_size 0
		.amdhsa_uses_dynamic_stack 0
		.amdhsa_system_sgpr_private_segment_wavefront_offset 0
		.amdhsa_system_sgpr_workgroup_id_x 1
		.amdhsa_system_sgpr_workgroup_id_y 0
		.amdhsa_system_sgpr_workgroup_id_z 0
		.amdhsa_system_sgpr_workgroup_info 0
		.amdhsa_system_vgpr_workitem_id 0
		.amdhsa_next_free_vgpr 20
		.amdhsa_next_free_sgpr 24
		.amdhsa_reserve_vcc 1
		.amdhsa_reserve_flat_scratch 0
		.amdhsa_float_round_mode_32 0
		.amdhsa_float_round_mode_16_64 0
		.amdhsa_float_denorm_mode_32 3
		.amdhsa_float_denorm_mode_16_64 3
		.amdhsa_dx10_clamp 1
		.amdhsa_ieee_mode 1
		.amdhsa_fp16_overflow 0
		.amdhsa_exception_fp_ieee_invalid_op 0
		.amdhsa_exception_fp_denorm_src 0
		.amdhsa_exception_fp_ieee_div_zero 0
		.amdhsa_exception_fp_ieee_overflow 0
		.amdhsa_exception_fp_ieee_underflow 0
		.amdhsa_exception_fp_ieee_inexact 0
		.amdhsa_exception_int_div_zero 0
	.end_amdhsa_kernel
	.section	.text._ZN4vllm42fused_add_rms_norm_static_fp8_quant_kernelIN3c104HalfELi0ENS1_13Float8_e4m3fnEEENSt9enable_ifIXooeqT0_Li0Entsr12_typeConvertIT_EE6existsEvE4typeEPT1_PS5_iSA_PKS5_PKffii,"axG",@progbits,_ZN4vllm42fused_add_rms_norm_static_fp8_quant_kernelIN3c104HalfELi0ENS1_13Float8_e4m3fnEEENSt9enable_ifIXooeqT0_Li0Entsr12_typeConvertIT_EE6existsEvE4typeEPT1_PS5_iSA_PKS5_PKffii,comdat
.Lfunc_end14:
	.size	_ZN4vllm42fused_add_rms_norm_static_fp8_quant_kernelIN3c104HalfELi0ENS1_13Float8_e4m3fnEEENSt9enable_ifIXooeqT0_Li0Entsr12_typeConvertIT_EE6existsEvE4typeEPT1_PS5_iSA_PKS5_PKffii, .Lfunc_end14-_ZN4vllm42fused_add_rms_norm_static_fp8_quant_kernelIN3c104HalfELi0ENS1_13Float8_e4m3fnEEENSt9enable_ifIXooeqT0_Li0Entsr12_typeConvertIT_EE6existsEvE4typeEPT1_PS5_iSA_PKS5_PKffii
                                        ; -- End function
	.set _ZN4vllm42fused_add_rms_norm_static_fp8_quant_kernelIN3c104HalfELi0ENS1_13Float8_e4m3fnEEENSt9enable_ifIXooeqT0_Li0Entsr12_typeConvertIT_EE6existsEvE4typeEPT1_PS5_iSA_PKS5_PKffii.num_vgpr, 20
	.set _ZN4vllm42fused_add_rms_norm_static_fp8_quant_kernelIN3c104HalfELi0ENS1_13Float8_e4m3fnEEENSt9enable_ifIXooeqT0_Li0Entsr12_typeConvertIT_EE6existsEvE4typeEPT1_PS5_iSA_PKS5_PKffii.num_agpr, 0
	.set _ZN4vllm42fused_add_rms_norm_static_fp8_quant_kernelIN3c104HalfELi0ENS1_13Float8_e4m3fnEEENSt9enable_ifIXooeqT0_Li0Entsr12_typeConvertIT_EE6existsEvE4typeEPT1_PS5_iSA_PKS5_PKffii.numbered_sgpr, 24
	.set _ZN4vllm42fused_add_rms_norm_static_fp8_quant_kernelIN3c104HalfELi0ENS1_13Float8_e4m3fnEEENSt9enable_ifIXooeqT0_Li0Entsr12_typeConvertIT_EE6existsEvE4typeEPT1_PS5_iSA_PKS5_PKffii.num_named_barrier, 0
	.set _ZN4vllm42fused_add_rms_norm_static_fp8_quant_kernelIN3c104HalfELi0ENS1_13Float8_e4m3fnEEENSt9enable_ifIXooeqT0_Li0Entsr12_typeConvertIT_EE6existsEvE4typeEPT1_PS5_iSA_PKS5_PKffii.private_seg_size, 0
	.set _ZN4vllm42fused_add_rms_norm_static_fp8_quant_kernelIN3c104HalfELi0ENS1_13Float8_e4m3fnEEENSt9enable_ifIXooeqT0_Li0Entsr12_typeConvertIT_EE6existsEvE4typeEPT1_PS5_iSA_PKS5_PKffii.uses_vcc, 1
	.set _ZN4vllm42fused_add_rms_norm_static_fp8_quant_kernelIN3c104HalfELi0ENS1_13Float8_e4m3fnEEENSt9enable_ifIXooeqT0_Li0Entsr12_typeConvertIT_EE6existsEvE4typeEPT1_PS5_iSA_PKS5_PKffii.uses_flat_scratch, 0
	.set _ZN4vllm42fused_add_rms_norm_static_fp8_quant_kernelIN3c104HalfELi0ENS1_13Float8_e4m3fnEEENSt9enable_ifIXooeqT0_Li0Entsr12_typeConvertIT_EE6existsEvE4typeEPT1_PS5_iSA_PKS5_PKffii.has_dyn_sized_stack, 0
	.set _ZN4vllm42fused_add_rms_norm_static_fp8_quant_kernelIN3c104HalfELi0ENS1_13Float8_e4m3fnEEENSt9enable_ifIXooeqT0_Li0Entsr12_typeConvertIT_EE6existsEvE4typeEPT1_PS5_iSA_PKS5_PKffii.has_recursion, 0
	.set _ZN4vllm42fused_add_rms_norm_static_fp8_quant_kernelIN3c104HalfELi0ENS1_13Float8_e4m3fnEEENSt9enable_ifIXooeqT0_Li0Entsr12_typeConvertIT_EE6existsEvE4typeEPT1_PS5_iSA_PKS5_PKffii.has_indirect_call, 0
	.section	.AMDGPU.csdata,"",@progbits
; Kernel info:
; codeLenInByte = 1796
; TotalNumSgprs: 28
; NumVgprs: 20
; ScratchSize: 0
; MemoryBound: 0
; FloatMode: 240
; IeeeMode: 1
; LDSByteSize: 68 bytes/workgroup (compile time only)
; SGPRBlocks: 3
; VGPRBlocks: 4
; NumSGPRsForWavesPerEU: 28
; NumVGPRsForWavesPerEU: 20
; Occupancy: 10
; WaveLimiterHint : 0
; COMPUTE_PGM_RSRC2:SCRATCH_EN: 0
; COMPUTE_PGM_RSRC2:USER_SGPR: 6
; COMPUTE_PGM_RSRC2:TRAP_HANDLER: 0
; COMPUTE_PGM_RSRC2:TGID_X_EN: 1
; COMPUTE_PGM_RSRC2:TGID_Y_EN: 0
; COMPUTE_PGM_RSRC2:TGID_Z_EN: 0
; COMPUTE_PGM_RSRC2:TIDIG_COMP_CNT: 0
	.section	.text._ZN4vllm42fused_add_rms_norm_static_fp8_quant_kernelIN3c104HalfELi0ENS1_15Float8_e4m3fnuzEEENSt9enable_ifIXooeqT0_Li0Entsr12_typeConvertIT_EE6existsEvE4typeEPT1_PS5_iSA_PKS5_PKffii,"axG",@progbits,_ZN4vllm42fused_add_rms_norm_static_fp8_quant_kernelIN3c104HalfELi0ENS1_15Float8_e4m3fnuzEEENSt9enable_ifIXooeqT0_Li0Entsr12_typeConvertIT_EE6existsEvE4typeEPT1_PS5_iSA_PKS5_PKffii,comdat
	.protected	_ZN4vllm42fused_add_rms_norm_static_fp8_quant_kernelIN3c104HalfELi0ENS1_15Float8_e4m3fnuzEEENSt9enable_ifIXooeqT0_Li0Entsr12_typeConvertIT_EE6existsEvE4typeEPT1_PS5_iSA_PKS5_PKffii ; -- Begin function _ZN4vllm42fused_add_rms_norm_static_fp8_quant_kernelIN3c104HalfELi0ENS1_15Float8_e4m3fnuzEEENSt9enable_ifIXooeqT0_Li0Entsr12_typeConvertIT_EE6existsEvE4typeEPT1_PS5_iSA_PKS5_PKffii
	.globl	_ZN4vllm42fused_add_rms_norm_static_fp8_quant_kernelIN3c104HalfELi0ENS1_15Float8_e4m3fnuzEEENSt9enable_ifIXooeqT0_Li0Entsr12_typeConvertIT_EE6existsEvE4typeEPT1_PS5_iSA_PKS5_PKffii
	.p2align	8
	.type	_ZN4vllm42fused_add_rms_norm_static_fp8_quant_kernelIN3c104HalfELi0ENS1_15Float8_e4m3fnuzEEENSt9enable_ifIXooeqT0_Li0Entsr12_typeConvertIT_EE6existsEvE4typeEPT1_PS5_iSA_PKS5_PKffii,@function
_ZN4vllm42fused_add_rms_norm_static_fp8_quant_kernelIN3c104HalfELi0ENS1_15Float8_e4m3fnuzEEENSt9enable_ifIXooeqT0_Li0Entsr12_typeConvertIT_EE6existsEvE4typeEPT1_PS5_iSA_PKS5_PKffii: ; @_ZN4vllm42fused_add_rms_norm_static_fp8_quant_kernelIN3c104HalfELi0ENS1_15Float8_e4m3fnuzEEENSt9enable_ifIXooeqT0_Li0Entsr12_typeConvertIT_EE6existsEvE4typeEPT1_PS5_iSA_PKS5_PKffii
; %bb.0:
	s_load_dword s20, s[4:5], 0x38
	s_load_dwordx2 s[12:13], s[4:5], 0x18
                                        ; implicit-def: $sgpr7
	s_waitcnt lgkmcnt(0)
	v_cmp_gt_i32_e64 s[0:1], s20, v0
	v_cmp_le_i32_e32 vcc, s20, v0
	s_and_saveexec_b64 s[2:3], vcc
	s_xor_b64 s[2:3], exec, s[2:3]
	s_cbranch_execz .LBB15_2
; %bb.1:
	s_load_dword s7, s[4:5], 0x4c
	s_waitcnt lgkmcnt(0)
	s_and_b32 s7, s7, 0xffff
.LBB15_2:
	s_or_saveexec_b64 s[2:3], s[2:3]
	s_load_dwordx2 s[14:15], s[4:5], 0x0
	s_load_dwordx4 s[8:11], s[4:5], 0x20
	v_mov_b32_e32 v3, 0
	v_mov_b32_e32 v1, s6
	;; [unrolled: 1-line block ×3, first 2 shown]
	s_xor_b64 exec, exec, s[2:3]
	s_cbranch_execz .LBB15_6
; %bb.3:
	s_load_dword s22, s[4:5], 0x10
	s_load_dword s7, s[4:5], 0x4c
	s_load_dwordx2 s[16:17], s[4:5], 0x8
	s_mul_i32 s21, s20, s6
	v_mov_b32_e32 v2, 0
	s_waitcnt lgkmcnt(0)
	s_mul_i32 s22, s22, s6
	s_and_b32 s7, s7, 0xffff
	s_mov_b64 s[18:19], 0
	v_mov_b32_e32 v4, s17
	v_mov_b32_e32 v5, s13
	;; [unrolled: 1-line block ×4, first 2 shown]
.LBB15_4:                               ; =>This Inner Loop Header: Depth=1
	v_add_u32_e32 v1, s22, v6
	v_lshlrev_b64 v[7:8], 1, v[1:2]
	v_add_u32_e32 v1, s21, v6
	v_lshlrev_b64 v[9:10], 1, v[1:2]
	v_add_co_u32_e32 v7, vcc, s16, v7
	v_addc_co_u32_e32 v8, vcc, v4, v8, vcc
	global_load_ushort v1, v[7:8], off
	v_add_co_u32_e32 v7, vcc, s12, v9
	v_addc_co_u32_e32 v8, vcc, v5, v10, vcc
	global_load_ushort v9, v[7:8], off
	v_add_u32_e32 v6, s7, v6
	v_cmp_le_i32_e32 vcc, s20, v6
	s_or_b64 s[18:19], vcc, s[18:19]
	s_waitcnt vmcnt(0)
	v_add_f16_e32 v1, v1, v9
	v_fma_mix_f32 v3, v1, v1, v3 op_sel_hi:[1,1,0]
	global_store_short v[7:8], v1, off
	s_andn2_b64 exec, exec, s[18:19]
	s_cbranch_execnz .LBB15_4
; %bb.5:
	s_or_b64 exec, exec, s[18:19]
	v_mov_b32_e32 v1, s6
	v_mov_b32_e32 v6, s7
.LBB15_6:
	s_or_b64 exec, exec, s[2:3]
	v_mbcnt_lo_u32_b32 v2, -1, 0
	v_mbcnt_hi_u32_b32 v2, -1, v2
	v_and_b32_e32 v4, 63, v2
	v_cmp_ne_u32_e32 vcc, 63, v4
	v_addc_co_u32_e32 v5, vcc, 0, v2, vcc
	v_lshlrev_b32_e32 v5, 2, v5
	ds_bpermute_b32 v5, v5, v3
	v_and_b32_e32 v7, 0x3c0, v0
	v_sub_u32_e64 v7, v6, v7 clamp
	v_add_u32_e32 v8, 1, v2
	v_cmp_lt_u32_e32 vcc, v8, v7
	s_waitcnt lgkmcnt(0)
	v_add_f32_e32 v5, v3, v5
	v_cndmask_b32_e32 v3, v3, v5, vcc
	v_cmp_gt_u32_e32 vcc, 62, v4
	v_cndmask_b32_e64 v5, 0, 2, vcc
	v_add_lshl_u32 v5, v5, v2, 2
	ds_bpermute_b32 v5, v5, v3
	v_add_u32_e32 v8, 2, v2
	v_cmp_lt_u32_e32 vcc, v8, v7
	v_add_u32_e32 v8, 4, v2
	s_waitcnt lgkmcnt(0)
	v_add_f32_e32 v5, v3, v5
	v_cndmask_b32_e32 v3, v3, v5, vcc
	v_cmp_gt_u32_e32 vcc, 60, v4
	v_cndmask_b32_e64 v5, 0, 4, vcc
	v_add_lshl_u32 v5, v5, v2, 2
	ds_bpermute_b32 v5, v5, v3
	v_cmp_lt_u32_e32 vcc, v8, v7
	v_add_u32_e32 v8, 8, v2
	s_waitcnt lgkmcnt(0)
	v_add_f32_e32 v5, v3, v5
	v_cndmask_b32_e32 v3, v3, v5, vcc
	v_cmp_gt_u32_e32 vcc, 56, v4
	v_cndmask_b32_e64 v5, 0, 8, vcc
	v_add_lshl_u32 v5, v5, v2, 2
	ds_bpermute_b32 v5, v5, v3
	;; [unrolled: 9-line block ×3, first 2 shown]
	v_add_u32_e32 v5, 16, v2
	v_cmp_lt_u32_e32 vcc, v5, v7
	s_waitcnt lgkmcnt(0)
	v_add_f32_e32 v4, v3, v4
	v_cndmask_b32_e32 v4, v3, v4, vcc
	v_lshlrev_b32_e32 v3, 2, v2
	v_or_b32_e32 v5, 0x80, v3
	ds_bpermute_b32 v5, v5, v4
	v_cmp_lt_u32_e32 vcc, v8, v7
	s_waitcnt lgkmcnt(0)
	v_add_f32_e32 v5, v4, v5
	v_cndmask_b32_e32 v4, v4, v5, vcc
	v_cmp_eq_u32_e32 vcc, 0, v2
	s_and_saveexec_b64 s[2:3], vcc
; %bb.7:
	v_lshrrev_b32_e32 v5, 4, v0
	v_and_b32_e32 v5, 60, v5
	ds_write_b32 v5, v4
; %bb.8:
	s_or_b64 exec, exec, s[2:3]
	v_cmp_gt_u32_e32 vcc, 16, v0
	s_waitcnt vmcnt(0) lgkmcnt(0)
	s_barrier
	s_and_saveexec_b64 s[6:7], vcc
	s_cbranch_execz .LBB15_10
; %bb.9:
	ds_read_b32 v4, v3
	v_and_b32_e32 v5, 15, v2
	v_cmp_ne_u32_e32 vcc, 15, v5
	v_addc_co_u32_e32 v7, vcc, 0, v2, vcc
	v_lshlrev_b32_e32 v7, 2, v7
	s_waitcnt lgkmcnt(0)
	ds_bpermute_b32 v7, v7, v4
	v_add_u32_e32 v8, 63, v6
	v_lshrrev_b32_e32 v8, 6, v8
	v_add_u32_e32 v9, 1, v5
	v_cmp_gt_u32_e64 s[2:3], 14, v5
	s_waitcnt lgkmcnt(0)
	v_add_f32_e32 v7, v4, v7
	v_cmp_lt_u32_e32 vcc, v9, v8
	v_cndmask_b32_e64 v9, 0, 2, s[2:3]
	v_cndmask_b32_e32 v7, v4, v7, vcc
	v_add_lshl_u32 v9, v9, v2, 2
	ds_bpermute_b32 v9, v9, v7
	v_add_u32_e32 v10, 2, v5
	v_cmp_lt_u32_e64 s[2:3], v10, v8
	v_or_b32_e32 v3, 32, v3
	s_waitcnt lgkmcnt(0)
	v_add_f32_e32 v9, v7, v9
	v_cndmask_b32_e64 v7, v7, v9, s[2:3]
	v_cmp_gt_u32_e64 s[2:3], 12, v5
	v_cndmask_b32_e64 v9, 0, 4, s[2:3]
	v_add_lshl_u32 v2, v9, v2, 2
	ds_bpermute_b32 v2, v2, v7
	v_add_u32_e32 v9, 4, v5
	v_cmp_lt_u32_e64 s[2:3], v9, v8
	v_add_u32_e32 v5, 8, v5
	s_waitcnt lgkmcnt(0)
	v_add_f32_e32 v2, v7, v2
	v_cndmask_b32_e64 v2, v7, v2, s[2:3]
	ds_bpermute_b32 v3, v3, v2
	v_cmp_lt_u32_e64 s[2:3], v5, v8
	s_waitcnt lgkmcnt(0)
	v_add_f32_e32 v3, v2, v3
	v_cndmask_b32_e64 v2, v2, v3, s[2:3]
	v_cndmask_b32_e32 v4, v4, v2, vcc
.LBB15_10:
	s_or_b64 exec, exec, s[6:7]
	v_cmp_eq_u32_e32 vcc, 0, v0
	s_and_saveexec_b64 s[2:3], vcc
	s_cbranch_execz .LBB15_12
; %bb.11:
	v_cvt_f32_i32_e32 v2, s20
	s_load_dword s4, s[4:5], 0x30
	s_mov_b32 s5, 0x800000
	v_div_scale_f32 v3, s[6:7], v2, v2, v4
	v_div_scale_f32 v5, vcc, v4, v2, v4
	v_rcp_f32_e32 v7, v3
	v_fma_f32 v8, -v3, v7, 1.0
	v_fmac_f32_e32 v7, v8, v7
	v_mul_f32_e32 v8, v5, v7
	v_fma_f32 v9, -v3, v8, v5
	v_fmac_f32_e32 v8, v9, v7
	v_fma_f32 v3, -v3, v8, v5
	v_div_fmas_f32 v3, v3, v7, v8
	v_div_fixup_f32 v2, v3, v2, v4
	s_waitcnt lgkmcnt(0)
	v_add_f32_e32 v2, s4, v2
	v_mul_f32_e32 v3, 0x4b800000, v2
	v_cmp_gt_f32_e32 vcc, s5, v2
	v_cndmask_b32_e32 v2, v2, v3, vcc
	v_rsq_f32_e32 v2, v2
	v_mul_f32_e32 v3, 0x45800000, v2
	v_cndmask_b32_e32 v2, v2, v3, vcc
	v_mov_b32_e32 v3, 0
	ds_write_b32 v3, v2 offset:64
.LBB15_12:
	s_or_b64 exec, exec, s[2:3]
	s_waitcnt lgkmcnt(0)
	s_barrier
	s_and_saveexec_b64 s[2:3], s[0:1]
	s_cbranch_execz .LBB15_27
; %bb.13:
	s_load_dword s10, s[10:11], 0x0
	s_mov_b64 s[2:3], 0
	v_mov_b32_e32 v8, s13
	v_mov_b32_e32 v9, s9
	s_mov_b64 s[4:5], 0x7f800000
	s_waitcnt lgkmcnt(0)
	v_div_scale_f32 v2, s[0:1], s10, s10, 1.0
	v_div_scale_f32 v3, vcc, 1.0, s10, 1.0
	s_mov_b64 s[6:7], 0x43700001
	s_movk_i32 s9, 0x78
	s_movk_i32 s13, 0x80
	;; [unrolled: 1-line block ×3, first 2 shown]
	v_mov_b32_e32 v11, 0x77
	v_mov_b32_e32 v13, 0xffffff8a
	v_rcp_f32_e32 v4, v2
	v_fma_f32 v5, -v2, v4, 1.0
	v_fmac_f32_e32 v4, v5, v4
	v_mul_f32_e32 v5, v3, v4
	v_fma_f32 v7, -v2, v5, v3
	v_fmac_f32_e32 v5, v7, v4
	v_fma_f32 v2, -v2, v5, v3
	v_div_fmas_f32 v2, v2, v4, v5
	v_mov_b32_e32 v3, 0
	ds_read_b32 v10, v3 offset:64
	v_mul_lo_u32 v7, s20, v1
	v_div_fixup_f32 v12, v2, s10, 1.0
	s_branch .LBB15_16
.LBB15_14:                              ;   in Loop: Header=BB15_16 Depth=1
	s_or_b64 exec, exec, s[0:1]
.LBB15_15:                              ;   in Loop: Header=BB15_16 Depth=1
	s_or_b64 exec, exec, s[10:11]
	v_mov_b32_e32 v5, s15
	v_add_co_u32_e32 v1, vcc, s14, v2
	v_addc_co_u32_e32 v2, vcc, 0, v5, vcc
	v_add_u32_e32 v0, v0, v6
	v_cmp_le_i32_e32 vcc, s20, v0
	s_or_b64 s[2:3], vcc, s[2:3]
	global_store_byte v[1:2], v4, off
	s_andn2_b64 exec, exec, s[2:3]
	s_cbranch_execz .LBB15_27
.LBB15_16:                              ; =>This Inner Loop Header: Depth=1
	v_add_u32_e32 v2, v7, v0
	v_lshlrev_b64 v[4:5], 1, v[2:3]
	v_ashrrev_i32_e32 v1, 31, v0
	v_add_co_u32_e32 v4, vcc, s12, v4
	v_addc_co_u32_e32 v5, vcc, v8, v5, vcc
	global_load_ushort v14, v[4:5], off
	v_lshlrev_b64 v[4:5], 1, v[0:1]
	v_add_co_u32_e32 v4, vcc, s8, v4
	v_addc_co_u32_e32 v5, vcc, v9, v5, vcc
	global_load_ushort v1, v[4:5], off
	v_mov_b32_e32 v5, v3
	s_waitcnt vmcnt(1) lgkmcnt(0)
	v_fma_mixlo_f16 v4, v10, v14, 0 op_sel_hi:[0,1,0]
	s_waitcnt vmcnt(0)
	v_mul_f16_e32 v1, v1, v4
	v_cvt_f32_f16_e32 v1, v1
	v_mul_f32_e32 v1, v12, v1
	v_min_f32_e32 v1, 0x43600000, v1
	v_max_f32_e32 v1, 0xc3600000, v1
	v_and_b32_e32 v4, 0x7f800000, v1
	v_cmp_ne_u64_e32 vcc, s[4:5], v[4:5]
	v_mov_b32_e32 v4, 0x80
	s_and_saveexec_b64 s[10:11], vcc
	s_cbranch_execz .LBB15_15
; %bb.17:                               ;   in Loop: Header=BB15_16 Depth=1
	v_and_b32_e32 v4, 0x7fffffff, v1
	v_mov_b32_e32 v5, v3
	v_cmp_gt_u64_e32 vcc, s[6:7], v[4:5]
                                        ; implicit-def: $vgpr4
	s_and_saveexec_b64 s[0:1], vcc
	s_xor_b64 s[16:17], exec, s[0:1]
	s_cbranch_execz .LBB15_25
; %bb.18:                               ;   in Loop: Header=BB15_16 Depth=1
	v_cmp_ne_u32_e32 vcc, 0, v1
	v_mov_b32_e32 v4, 0
	s_and_saveexec_b64 s[18:19], vcc
	s_cbranch_execz .LBB15_24
; %bb.19:                               ;   in Loop: Header=BB15_16 Depth=1
	v_bfe_u32 v18, v1, 23, 8
	v_sub_u32_e64 v5, s9, v18 clamp
	v_cmp_eq_u32_e32 vcc, 0, v18
	v_and_b32_e32 v4, 0x7fffff, v1
	v_cndmask_b32_e32 v19, v5, v11, vcc
	v_or_b32_e32 v14, 0x800000, v4
	v_add_u32_e32 v5, 20, v19
	v_cndmask_b32_e32 v4, v14, v4, vcc
	v_lshlrev_b64 v[14:15], v5, -1
	v_mov_b32_e32 v5, v3
	v_add_u32_e32 v16, 19, v19
	v_lshlrev_b64 v[16:17], v16, 1
	v_bfi_b32 v14, v14, 0, v4
	v_lshrrev_b64 v[4:5], v19, v[4:5]
	v_bfi_b32 v15, v15, 0, 0
	v_cmp_eq_u64_e64 s[0:1], v[14:15], v[16:17]
	v_add_u32_e32 v5, 0xffffff89, v18
	v_and_b32_e32 v16, 0x100000, v4
	v_mov_b32_e32 v17, v3
	v_cndmask_b32_e32 v5, v5, v13, vcc
	v_cmp_eq_u64_e32 vcc, 0, v[16:17]
	v_lshrrev_b32_e32 v14, 23, v4
	s_and_b64 vcc, vcc, s[0:1]
	v_add3_u32 v15, v5, v19, v14
	v_subbrev_co_u32_e32 v5, vcc, 0, v4, vcc
	v_add_u32_e32 v16, -1, v15
	v_and_b32_e32 v5, 0xfffff, v5
	v_add_u32_e32 v4, v5, v4
	v_mov_b32_e32 v5, v3
	v_cmp_ne_u32_e32 vcc, 0, v16
                                        ; implicit-def: $vgpr14
	s_and_saveexec_b64 s[0:1], vcc
	s_xor_b64 s[0:1], exec, s[0:1]
; %bb.20:                               ;   in Loop: Header=BB15_16 Depth=1
	v_and_b32_e32 v17, 0x1000000, v4
	v_mov_b32_e32 v18, v3
	v_cmp_eq_u64_e32 vcc, 0, v[17:18]
	v_bfe_u32 v14, v4, 24, 1
	v_lshrrev_b64 v[4:5], v14, v[4:5]
	v_cndmask_b32_e32 v14, v15, v16, vcc
; %bb.21:                               ;   in Loop: Header=BB15_16 Depth=1
	s_andn2_saveexec_b64 s[0:1], s[0:1]
; %bb.22:                               ;   in Loop: Header=BB15_16 Depth=1
	v_bfe_u32 v14, v4, 23, 1
; %bb.23:                               ;   in Loop: Header=BB15_16 Depth=1
	s_or_b64 exec, exec, s[0:1]
	v_lshrrev_b64 v[4:5], 20, v[4:5]
	v_cmp_gt_i32_e32 vcc, 16, v14
	v_cndmask_b32_e32 v5, 0, v5, vcc
	v_cndmask_b32_e32 v4, 7, v4, vcc
	v_and_b32_sdwa v1, v1, s13 dst_sel:DWORD dst_unused:UNUSED_PAD src0_sel:BYTE_3 src1_sel:DWORD
	v_min_i32_e32 v15, 15, v14
	v_cmp_eq_u64_e64 s[0:1], 0, v[4:5]
	v_cmp_eq_u32_e32 vcc, 0, v14
	v_lshl_or_b32 v1, v15, 3, v1
	v_and_or_b32 v1, v4, 7, v1
	s_and_b64 s[0:1], vcc, s[0:1]
	v_cndmask_b32_e64 v4, v1, 0, s[0:1]
.LBB15_24:                              ;   in Loop: Header=BB15_16 Depth=1
	s_or_b64 exec, exec, s[18:19]
                                        ; implicit-def: $vgpr1
.LBB15_25:                              ;   in Loop: Header=BB15_16 Depth=1
	s_andn2_saveexec_b64 s[0:1], s[16:17]
	s_cbranch_execz .LBB15_14
; %bb.26:                               ;   in Loop: Header=BB15_16 Depth=1
	v_or_b32_sdwa v4, v1, s21 dst_sel:DWORD dst_unused:UNUSED_PAD src0_sel:BYTE_3 src1_sel:DWORD
	s_branch .LBB15_14
.LBB15_27:
	s_endpgm
	.section	.rodata,"a",@progbits
	.p2align	6, 0x0
	.amdhsa_kernel _ZN4vllm42fused_add_rms_norm_static_fp8_quant_kernelIN3c104HalfELi0ENS1_15Float8_e4m3fnuzEEENSt9enable_ifIXooeqT0_Li0Entsr12_typeConvertIT_EE6existsEvE4typeEPT1_PS5_iSA_PKS5_PKffii
		.amdhsa_group_segment_fixed_size 68
		.amdhsa_private_segment_fixed_size 0
		.amdhsa_kernarg_size 320
		.amdhsa_user_sgpr_count 6
		.amdhsa_user_sgpr_private_segment_buffer 1
		.amdhsa_user_sgpr_dispatch_ptr 0
		.amdhsa_user_sgpr_queue_ptr 0
		.amdhsa_user_sgpr_kernarg_segment_ptr 1
		.amdhsa_user_sgpr_dispatch_id 0
		.amdhsa_user_sgpr_flat_scratch_init 0
		.amdhsa_user_sgpr_private_segment_size 0
		.amdhsa_uses_dynamic_stack 0
		.amdhsa_system_sgpr_private_segment_wavefront_offset 0
		.amdhsa_system_sgpr_workgroup_id_x 1
		.amdhsa_system_sgpr_workgroup_id_y 0
		.amdhsa_system_sgpr_workgroup_id_z 0
		.amdhsa_system_sgpr_workgroup_info 0
		.amdhsa_system_vgpr_workitem_id 0
		.amdhsa_next_free_vgpr 20
		.amdhsa_next_free_sgpr 23
		.amdhsa_reserve_vcc 1
		.amdhsa_reserve_flat_scratch 0
		.amdhsa_float_round_mode_32 0
		.amdhsa_float_round_mode_16_64 0
		.amdhsa_float_denorm_mode_32 3
		.amdhsa_float_denorm_mode_16_64 3
		.amdhsa_dx10_clamp 1
		.amdhsa_ieee_mode 1
		.amdhsa_fp16_overflow 0
		.amdhsa_exception_fp_ieee_invalid_op 0
		.amdhsa_exception_fp_denorm_src 0
		.amdhsa_exception_fp_ieee_div_zero 0
		.amdhsa_exception_fp_ieee_overflow 0
		.amdhsa_exception_fp_ieee_underflow 0
		.amdhsa_exception_fp_ieee_inexact 0
		.amdhsa_exception_int_div_zero 0
	.end_amdhsa_kernel
	.section	.text._ZN4vllm42fused_add_rms_norm_static_fp8_quant_kernelIN3c104HalfELi0ENS1_15Float8_e4m3fnuzEEENSt9enable_ifIXooeqT0_Li0Entsr12_typeConvertIT_EE6existsEvE4typeEPT1_PS5_iSA_PKS5_PKffii,"axG",@progbits,_ZN4vllm42fused_add_rms_norm_static_fp8_quant_kernelIN3c104HalfELi0ENS1_15Float8_e4m3fnuzEEENSt9enable_ifIXooeqT0_Li0Entsr12_typeConvertIT_EE6existsEvE4typeEPT1_PS5_iSA_PKS5_PKffii,comdat
.Lfunc_end15:
	.size	_ZN4vllm42fused_add_rms_norm_static_fp8_quant_kernelIN3c104HalfELi0ENS1_15Float8_e4m3fnuzEEENSt9enable_ifIXooeqT0_Li0Entsr12_typeConvertIT_EE6existsEvE4typeEPT1_PS5_iSA_PKS5_PKffii, .Lfunc_end15-_ZN4vllm42fused_add_rms_norm_static_fp8_quant_kernelIN3c104HalfELi0ENS1_15Float8_e4m3fnuzEEENSt9enable_ifIXooeqT0_Li0Entsr12_typeConvertIT_EE6existsEvE4typeEPT1_PS5_iSA_PKS5_PKffii
                                        ; -- End function
	.set _ZN4vllm42fused_add_rms_norm_static_fp8_quant_kernelIN3c104HalfELi0ENS1_15Float8_e4m3fnuzEEENSt9enable_ifIXooeqT0_Li0Entsr12_typeConvertIT_EE6existsEvE4typeEPT1_PS5_iSA_PKS5_PKffii.num_vgpr, 20
	.set _ZN4vllm42fused_add_rms_norm_static_fp8_quant_kernelIN3c104HalfELi0ENS1_15Float8_e4m3fnuzEEENSt9enable_ifIXooeqT0_Li0Entsr12_typeConvertIT_EE6existsEvE4typeEPT1_PS5_iSA_PKS5_PKffii.num_agpr, 0
	.set _ZN4vllm42fused_add_rms_norm_static_fp8_quant_kernelIN3c104HalfELi0ENS1_15Float8_e4m3fnuzEEENSt9enable_ifIXooeqT0_Li0Entsr12_typeConvertIT_EE6existsEvE4typeEPT1_PS5_iSA_PKS5_PKffii.numbered_sgpr, 23
	.set _ZN4vllm42fused_add_rms_norm_static_fp8_quant_kernelIN3c104HalfELi0ENS1_15Float8_e4m3fnuzEEENSt9enable_ifIXooeqT0_Li0Entsr12_typeConvertIT_EE6existsEvE4typeEPT1_PS5_iSA_PKS5_PKffii.num_named_barrier, 0
	.set _ZN4vllm42fused_add_rms_norm_static_fp8_quant_kernelIN3c104HalfELi0ENS1_15Float8_e4m3fnuzEEENSt9enable_ifIXooeqT0_Li0Entsr12_typeConvertIT_EE6existsEvE4typeEPT1_PS5_iSA_PKS5_PKffii.private_seg_size, 0
	.set _ZN4vllm42fused_add_rms_norm_static_fp8_quant_kernelIN3c104HalfELi0ENS1_15Float8_e4m3fnuzEEENSt9enable_ifIXooeqT0_Li0Entsr12_typeConvertIT_EE6existsEvE4typeEPT1_PS5_iSA_PKS5_PKffii.uses_vcc, 1
	.set _ZN4vllm42fused_add_rms_norm_static_fp8_quant_kernelIN3c104HalfELi0ENS1_15Float8_e4m3fnuzEEENSt9enable_ifIXooeqT0_Li0Entsr12_typeConvertIT_EE6existsEvE4typeEPT1_PS5_iSA_PKS5_PKffii.uses_flat_scratch, 0
	.set _ZN4vllm42fused_add_rms_norm_static_fp8_quant_kernelIN3c104HalfELi0ENS1_15Float8_e4m3fnuzEEENSt9enable_ifIXooeqT0_Li0Entsr12_typeConvertIT_EE6existsEvE4typeEPT1_PS5_iSA_PKS5_PKffii.has_dyn_sized_stack, 0
	.set _ZN4vllm42fused_add_rms_norm_static_fp8_quant_kernelIN3c104HalfELi0ENS1_15Float8_e4m3fnuzEEENSt9enable_ifIXooeqT0_Li0Entsr12_typeConvertIT_EE6existsEvE4typeEPT1_PS5_iSA_PKS5_PKffii.has_recursion, 0
	.set _ZN4vllm42fused_add_rms_norm_static_fp8_quant_kernelIN3c104HalfELi0ENS1_15Float8_e4m3fnuzEEENSt9enable_ifIXooeqT0_Li0Entsr12_typeConvertIT_EE6existsEvE4typeEPT1_PS5_iSA_PKS5_PKffii.has_indirect_call, 0
	.section	.AMDGPU.csdata,"",@progbits
; Kernel info:
; codeLenInByte = 1776
; TotalNumSgprs: 27
; NumVgprs: 20
; ScratchSize: 0
; MemoryBound: 0
; FloatMode: 240
; IeeeMode: 1
; LDSByteSize: 68 bytes/workgroup (compile time only)
; SGPRBlocks: 3
; VGPRBlocks: 4
; NumSGPRsForWavesPerEU: 27
; NumVGPRsForWavesPerEU: 20
; Occupancy: 10
; WaveLimiterHint : 0
; COMPUTE_PGM_RSRC2:SCRATCH_EN: 0
; COMPUTE_PGM_RSRC2:USER_SGPR: 6
; COMPUTE_PGM_RSRC2:TRAP_HANDLER: 0
; COMPUTE_PGM_RSRC2:TGID_X_EN: 1
; COMPUTE_PGM_RSRC2:TGID_Y_EN: 0
; COMPUTE_PGM_RSRC2:TGID_Z_EN: 0
; COMPUTE_PGM_RSRC2:TIDIG_COMP_CNT: 0
	.section	.text._ZN4vllm42fused_add_rms_norm_static_fp8_quant_kernelIN3c108BFloat16ELi0ENS1_13Float8_e4m3fnEEENSt9enable_ifIXooeqT0_Li0Entsr12_typeConvertIT_EE6existsEvE4typeEPT1_PS5_iSA_PKS5_PKffii,"axG",@progbits,_ZN4vllm42fused_add_rms_norm_static_fp8_quant_kernelIN3c108BFloat16ELi0ENS1_13Float8_e4m3fnEEENSt9enable_ifIXooeqT0_Li0Entsr12_typeConvertIT_EE6existsEvE4typeEPT1_PS5_iSA_PKS5_PKffii,comdat
	.protected	_ZN4vllm42fused_add_rms_norm_static_fp8_quant_kernelIN3c108BFloat16ELi0ENS1_13Float8_e4m3fnEEENSt9enable_ifIXooeqT0_Li0Entsr12_typeConvertIT_EE6existsEvE4typeEPT1_PS5_iSA_PKS5_PKffii ; -- Begin function _ZN4vllm42fused_add_rms_norm_static_fp8_quant_kernelIN3c108BFloat16ELi0ENS1_13Float8_e4m3fnEEENSt9enable_ifIXooeqT0_Li0Entsr12_typeConvertIT_EE6existsEvE4typeEPT1_PS5_iSA_PKS5_PKffii
	.globl	_ZN4vllm42fused_add_rms_norm_static_fp8_quant_kernelIN3c108BFloat16ELi0ENS1_13Float8_e4m3fnEEENSt9enable_ifIXooeqT0_Li0Entsr12_typeConvertIT_EE6existsEvE4typeEPT1_PS5_iSA_PKS5_PKffii
	.p2align	8
	.type	_ZN4vllm42fused_add_rms_norm_static_fp8_quant_kernelIN3c108BFloat16ELi0ENS1_13Float8_e4m3fnEEENSt9enable_ifIXooeqT0_Li0Entsr12_typeConvertIT_EE6existsEvE4typeEPT1_PS5_iSA_PKS5_PKffii,@function
_ZN4vllm42fused_add_rms_norm_static_fp8_quant_kernelIN3c108BFloat16ELi0ENS1_13Float8_e4m3fnEEENSt9enable_ifIXooeqT0_Li0Entsr12_typeConvertIT_EE6existsEvE4typeEPT1_PS5_iSA_PKS5_PKffii: ; @_ZN4vllm42fused_add_rms_norm_static_fp8_quant_kernelIN3c108BFloat16ELi0ENS1_13Float8_e4m3fnEEENSt9enable_ifIXooeqT0_Li0Entsr12_typeConvertIT_EE6existsEvE4typeEPT1_PS5_iSA_PKS5_PKffii
; %bb.0:
	s_load_dword s20, s[4:5], 0x38
	s_load_dwordx2 s[12:13], s[4:5], 0x18
                                        ; implicit-def: $sgpr7
	s_waitcnt lgkmcnt(0)
	v_cmp_gt_i32_e64 s[0:1], s20, v0
	v_cmp_le_i32_e32 vcc, s20, v0
	s_and_saveexec_b64 s[2:3], vcc
	s_xor_b64 s[2:3], exec, s[2:3]
	s_cbranch_execz .LBB16_2
; %bb.1:
	s_load_dword s7, s[4:5], 0x4c
	s_waitcnt lgkmcnt(0)
	s_and_b32 s7, s7, 0xffff
.LBB16_2:
	s_or_saveexec_b64 s[2:3], s[2:3]
	s_load_dwordx2 s[14:15], s[4:5], 0x0
	s_load_dwordx4 s[8:11], s[4:5], 0x20
	v_mov_b32_e32 v3, 0
	v_mov_b32_e32 v1, s6
	;; [unrolled: 1-line block ×3, first 2 shown]
	s_xor_b64 exec, exec, s[2:3]
	s_cbranch_execz .LBB16_6
; %bb.3:
	s_load_dword s22, s[4:5], 0x10
	s_load_dword s7, s[4:5], 0x4c
	s_load_dwordx2 s[16:17], s[4:5], 0x8
	s_mul_i32 s21, s20, s6
	v_mov_b32_e32 v2, 0
	s_waitcnt lgkmcnt(0)
	s_mul_i32 s22, s22, s6
	s_and_b32 s7, s7, 0xffff
	s_mov_b64 s[18:19], 0
	v_mov_b32_e32 v4, s17
	v_mov_b32_e32 v5, s13
	s_movk_i32 s17, 0x7fff
	v_mov_b32_e32 v6, 0x7fc0
	v_mov_b32_e32 v3, 0
	;; [unrolled: 1-line block ×3, first 2 shown]
.LBB16_4:                               ; =>This Inner Loop Header: Depth=1
	v_add_u32_e32 v1, s22, v7
	v_lshlrev_b64 v[8:9], 1, v[1:2]
	v_add_u32_e32 v1, s21, v7
	v_lshlrev_b64 v[10:11], 1, v[1:2]
	v_add_co_u32_e32 v8, vcc, s16, v8
	v_addc_co_u32_e32 v9, vcc, v4, v9, vcc
	v_add_co_u32_e32 v10, vcc, s12, v10
	v_addc_co_u32_e32 v11, vcc, v5, v11, vcc
	global_load_ushort v1, v[8:9], off
	global_load_ushort v12, v[10:11], off
	v_add_u32_e32 v7, s7, v7
	v_cmp_le_i32_e32 vcc, s20, v7
	s_or_b64 s[18:19], vcc, s[18:19]
	s_waitcnt vmcnt(1)
	v_lshlrev_b32_e32 v1, 16, v1
	s_waitcnt vmcnt(0)
	v_lshlrev_b32_e32 v8, 16, v12
	v_add_f32_e32 v1, v1, v8
	v_bfe_u32 v8, v1, 16, 1
	v_cmp_o_f32_e32 vcc, v1, v1
	v_add3_u32 v1, v1, v8, s17
	v_cndmask_b32_sdwa v1, v6, v1, vcc dst_sel:DWORD dst_unused:UNUSED_PAD src0_sel:DWORD src1_sel:WORD_1
	v_lshlrev_b32_e32 v8, 16, v1
	v_fmac_f32_e32 v3, v8, v8
	global_store_short v[10:11], v1, off
	s_andn2_b64 exec, exec, s[18:19]
	s_cbranch_execnz .LBB16_4
; %bb.5:
	s_or_b64 exec, exec, s[18:19]
	v_mov_b32_e32 v1, s6
	v_mov_b32_e32 v6, s7
.LBB16_6:
	s_or_b64 exec, exec, s[2:3]
	v_mbcnt_lo_u32_b32 v2, -1, 0
	v_mbcnt_hi_u32_b32 v2, -1, v2
	v_and_b32_e32 v4, 63, v2
	v_cmp_ne_u32_e32 vcc, 63, v4
	v_addc_co_u32_e32 v5, vcc, 0, v2, vcc
	v_lshlrev_b32_e32 v5, 2, v5
	ds_bpermute_b32 v5, v5, v3
	v_and_b32_e32 v7, 0x3c0, v0
	v_sub_u32_e64 v7, v6, v7 clamp
	v_add_u32_e32 v8, 1, v2
	v_cmp_lt_u32_e32 vcc, v8, v7
	s_waitcnt lgkmcnt(0)
	v_add_f32_e32 v5, v3, v5
	v_cndmask_b32_e32 v3, v3, v5, vcc
	v_cmp_gt_u32_e32 vcc, 62, v4
	v_cndmask_b32_e64 v5, 0, 2, vcc
	v_add_lshl_u32 v5, v5, v2, 2
	ds_bpermute_b32 v5, v5, v3
	v_add_u32_e32 v8, 2, v2
	v_cmp_lt_u32_e32 vcc, v8, v7
	v_add_u32_e32 v8, 4, v2
	s_waitcnt lgkmcnt(0)
	v_add_f32_e32 v5, v3, v5
	v_cndmask_b32_e32 v3, v3, v5, vcc
	v_cmp_gt_u32_e32 vcc, 60, v4
	v_cndmask_b32_e64 v5, 0, 4, vcc
	v_add_lshl_u32 v5, v5, v2, 2
	ds_bpermute_b32 v5, v5, v3
	v_cmp_lt_u32_e32 vcc, v8, v7
	v_add_u32_e32 v8, 8, v2
	s_waitcnt lgkmcnt(0)
	v_add_f32_e32 v5, v3, v5
	v_cndmask_b32_e32 v3, v3, v5, vcc
	v_cmp_gt_u32_e32 vcc, 56, v4
	v_cndmask_b32_e64 v5, 0, 8, vcc
	v_add_lshl_u32 v5, v5, v2, 2
	ds_bpermute_b32 v5, v5, v3
	;; [unrolled: 9-line block ×3, first 2 shown]
	v_add_u32_e32 v5, 16, v2
	v_cmp_lt_u32_e32 vcc, v5, v7
	s_waitcnt lgkmcnt(0)
	v_add_f32_e32 v4, v3, v4
	v_cndmask_b32_e32 v4, v3, v4, vcc
	v_lshlrev_b32_e32 v3, 2, v2
	v_or_b32_e32 v5, 0x80, v3
	ds_bpermute_b32 v5, v5, v4
	v_cmp_lt_u32_e32 vcc, v8, v7
	s_waitcnt lgkmcnt(0)
	v_add_f32_e32 v5, v4, v5
	v_cndmask_b32_e32 v4, v4, v5, vcc
	v_cmp_eq_u32_e32 vcc, 0, v2
	s_and_saveexec_b64 s[2:3], vcc
; %bb.7:
	v_lshrrev_b32_e32 v5, 4, v0
	v_and_b32_e32 v5, 60, v5
	ds_write_b32 v5, v4
; %bb.8:
	s_or_b64 exec, exec, s[2:3]
	v_cmp_gt_u32_e32 vcc, 16, v0
	s_waitcnt vmcnt(0) lgkmcnt(0)
	s_barrier
	s_and_saveexec_b64 s[6:7], vcc
	s_cbranch_execz .LBB16_10
; %bb.9:
	ds_read_b32 v4, v3
	v_and_b32_e32 v5, 15, v2
	v_cmp_ne_u32_e32 vcc, 15, v5
	v_addc_co_u32_e32 v7, vcc, 0, v2, vcc
	v_lshlrev_b32_e32 v7, 2, v7
	s_waitcnt lgkmcnt(0)
	ds_bpermute_b32 v7, v7, v4
	v_add_u32_e32 v8, 63, v6
	v_lshrrev_b32_e32 v8, 6, v8
	v_add_u32_e32 v9, 1, v5
	v_cmp_gt_u32_e64 s[2:3], 14, v5
	s_waitcnt lgkmcnt(0)
	v_add_f32_e32 v7, v4, v7
	v_cmp_lt_u32_e32 vcc, v9, v8
	v_cndmask_b32_e64 v9, 0, 2, s[2:3]
	v_cndmask_b32_e32 v7, v4, v7, vcc
	v_add_lshl_u32 v9, v9, v2, 2
	ds_bpermute_b32 v9, v9, v7
	v_add_u32_e32 v10, 2, v5
	v_cmp_lt_u32_e64 s[2:3], v10, v8
	v_or_b32_e32 v3, 32, v3
	s_waitcnt lgkmcnt(0)
	v_add_f32_e32 v9, v7, v9
	v_cndmask_b32_e64 v7, v7, v9, s[2:3]
	v_cmp_gt_u32_e64 s[2:3], 12, v5
	v_cndmask_b32_e64 v9, 0, 4, s[2:3]
	v_add_lshl_u32 v2, v9, v2, 2
	ds_bpermute_b32 v2, v2, v7
	v_add_u32_e32 v9, 4, v5
	v_cmp_lt_u32_e64 s[2:3], v9, v8
	v_add_u32_e32 v5, 8, v5
	s_waitcnt lgkmcnt(0)
	v_add_f32_e32 v2, v7, v2
	v_cndmask_b32_e64 v2, v7, v2, s[2:3]
	ds_bpermute_b32 v3, v3, v2
	v_cmp_lt_u32_e64 s[2:3], v5, v8
	s_waitcnt lgkmcnt(0)
	v_add_f32_e32 v3, v2, v3
	v_cndmask_b32_e64 v2, v2, v3, s[2:3]
	v_cndmask_b32_e32 v4, v4, v2, vcc
.LBB16_10:
	s_or_b64 exec, exec, s[6:7]
	v_cmp_eq_u32_e32 vcc, 0, v0
	s_and_saveexec_b64 s[2:3], vcc
	s_cbranch_execz .LBB16_12
; %bb.11:
	v_cvt_f32_i32_e32 v2, s20
	s_load_dword s4, s[4:5], 0x30
	s_mov_b32 s5, 0x800000
	v_div_scale_f32 v3, s[6:7], v2, v2, v4
	v_div_scale_f32 v5, vcc, v4, v2, v4
	v_rcp_f32_e32 v7, v3
	v_fma_f32 v8, -v3, v7, 1.0
	v_fmac_f32_e32 v7, v8, v7
	v_mul_f32_e32 v8, v5, v7
	v_fma_f32 v9, -v3, v8, v5
	v_fmac_f32_e32 v8, v9, v7
	v_fma_f32 v3, -v3, v8, v5
	v_div_fmas_f32 v3, v3, v7, v8
	v_div_fixup_f32 v2, v3, v2, v4
	s_waitcnt lgkmcnt(0)
	v_add_f32_e32 v2, s4, v2
	v_mul_f32_e32 v3, 0x4b800000, v2
	v_cmp_gt_f32_e32 vcc, s5, v2
	v_cndmask_b32_e32 v2, v2, v3, vcc
	v_rsq_f32_e32 v2, v2
	v_mul_f32_e32 v3, 0x45800000, v2
	v_cndmask_b32_e32 v2, v2, v3, vcc
	v_mov_b32_e32 v3, 0
	ds_write_b32 v3, v2 offset:64
.LBB16_12:
	s_or_b64 exec, exec, s[2:3]
	s_waitcnt lgkmcnt(0)
	s_barrier
	s_and_saveexec_b64 s[2:3], s[0:1]
	s_cbranch_execz .LBB16_33
; %bb.13:
	s_load_dword s10, s[10:11], 0x0
	v_mul_lo_u32 v7, s20, v1
	s_mov_b64 s[2:3], 0
	v_mov_b32_e32 v8, s13
	s_movk_i32 s13, 0x7fff
	s_waitcnt lgkmcnt(0)
	v_div_scale_f32 v2, s[0:1], s10, s10, 1.0
	v_div_scale_f32 v3, vcc, 1.0, s10, 1.0
	v_mov_b32_e32 v9, s9
	v_mov_b32_e32 v10, 0x7fc00000
	s_mov_b64 s[4:5], 0x7f800000
	s_movk_i32 s9, 0x80
	s_mov_b64 s[6:7], 0x43e00001
	s_movk_i32 s21, 0x79
	s_movk_i32 s22, 0x7f
	v_mov_b32_e32 v12, 0x78
	v_mov_b32_e32 v14, 0xffffff89
	v_rcp_f32_e32 v4, v2
	v_fma_f32 v1, -v2, v4, 1.0
	v_fmac_f32_e32 v4, v1, v4
	v_mul_f32_e32 v1, v3, v4
	v_fma_f32 v5, -v2, v1, v3
	v_fmac_f32_e32 v1, v5, v4
	v_fma_f32 v2, -v2, v1, v3
	v_div_fmas_f32 v1, v2, v4, v1
	v_mov_b32_e32 v3, 0
	ds_read_b32 v11, v3 offset:64
	v_div_fixup_f32 v13, v1, s10, 1.0
	s_branch .LBB16_15
.LBB16_14:                              ;   in Loop: Header=BB16_15 Depth=1
	s_or_b64 exec, exec, s[0:1]
	v_mov_b32_e32 v4, s15
	v_add_co_u32_e32 v1, vcc, s14, v2
	v_addc_co_u32_e32 v2, vcc, 0, v4, vcc
	v_add_u32_e32 v0, v0, v6
	v_cmp_le_i32_e32 vcc, s20, v0
	s_or_b64 s[2:3], vcc, s[2:3]
	global_store_byte v[1:2], v5, off
	s_andn2_b64 exec, exec, s[2:3]
	s_cbranch_execz .LBB16_33
.LBB16_15:                              ; =>This Inner Loop Header: Depth=1
	v_add_u32_e32 v2, v7, v0
	v_lshlrev_b64 v[4:5], 1, v[2:3]
	v_ashrrev_i32_e32 v1, 31, v0
	v_add_co_u32_e32 v4, vcc, s12, v4
	v_addc_co_u32_e32 v5, vcc, v8, v5, vcc
	global_load_ushort v15, v[4:5], off
	v_lshlrev_b64 v[4:5], 1, v[0:1]
	v_mov_b32_e32 v16, v3
	v_add_co_u32_e32 v4, vcc, s8, v4
	v_addc_co_u32_e32 v5, vcc, v9, v5, vcc
	global_load_ushort v1, v[4:5], off
	s_waitcnt vmcnt(1)
	v_lshlrev_b32_e32 v4, 16, v15
	s_waitcnt lgkmcnt(0)
	v_mul_f32_e32 v4, v11, v4
	v_bfe_u32 v5, v4, 16, 1
	v_add3_u32 v5, v4, v5, s13
	v_and_b32_e32 v5, 0xffff0000, v5
	v_cmp_o_f32_e32 vcc, v4, v4
	v_cndmask_b32_e32 v4, v10, v5, vcc
	s_waitcnt vmcnt(0)
	v_lshlrev_b32_e32 v1, 16, v1
	v_mul_f32_e32 v1, v4, v1
	v_bfe_u32 v4, v1, 16, 1
	v_add3_u32 v4, v1, v4, s13
	v_and_b32_e32 v4, 0xffff0000, v4
	v_cmp_o_f32_e32 vcc, v1, v1
	v_cndmask_b32_e32 v1, v10, v4, vcc
	v_mul_f32_e32 v1, v13, v1
	v_min_f32_e32 v1, 0x43e00000, v1
	v_max_f32_e32 v4, 0xc3e00000, v1
	v_and_b32_e32 v15, 0x7f800000, v4
	v_cmp_ne_u64_e32 vcc, s[4:5], v[15:16]
                                        ; implicit-def: $vgpr5
	s_and_saveexec_b64 s[0:1], vcc
	s_xor_b64 s[10:11], exec, s[0:1]
	s_cbranch_execz .LBB16_31
; %bb.16:                               ;   in Loop: Header=BB16_15 Depth=1
	v_and_b32_e32 v15, 0x7fffffff, v4
	v_mov_b32_e32 v16, v3
	v_cmp_gt_u64_e32 vcc, s[6:7], v[15:16]
	v_and_b32_sdwa v1, v4, s9 dst_sel:DWORD dst_unused:UNUSED_PAD src0_sel:BYTE_3 src1_sel:DWORD
                                        ; implicit-def: $vgpr5
	s_and_saveexec_b64 s[0:1], vcc
	s_xor_b64 s[16:17], exec, s[0:1]
	s_cbranch_execz .LBB16_28
; %bb.17:                               ;   in Loop: Header=BB16_15 Depth=1
	v_cmp_ne_u32_e32 vcc, 0, v4
	v_mov_b32_e32 v5, 0
	s_and_saveexec_b64 s[18:19], vcc
	s_cbranch_execz .LBB16_27
; %bb.18:                               ;   in Loop: Header=BB16_15 Depth=1
	v_bfe_u32 v19, v4, 23, 8
	v_and_b32_e32 v5, 0x7fffff, v4
	v_sub_u32_e64 v4, s21, v19 clamp
	v_cmp_eq_u32_e32 vcc, 0, v19
	v_or_b32_e32 v15, 0x800000, v5
	v_cndmask_b32_e32 v20, v4, v12, vcc
	v_cndmask_b32_e32 v4, v15, v5, vcc
	v_add_u32_e32 v5, 20, v20
	v_lshlrev_b64 v[15:16], v5, -1
	v_mov_b32_e32 v5, v3
	v_add_u32_e32 v17, 19, v20
	v_lshlrev_b64 v[17:18], v17, 1
	v_bfi_b32 v15, v15, 0, v4
	v_lshrrev_b64 v[4:5], v20, v[4:5]
	v_bfi_b32 v16, v16, 0, 0
	v_cmp_eq_u64_e64 s[0:1], v[15:16], v[17:18]
	v_add_u32_e32 v5, 0xffffff88, v19
	v_and_b32_e32 v17, 0x100000, v4
	v_mov_b32_e32 v18, v3
	v_cndmask_b32_e32 v5, v5, v14, vcc
	v_cmp_eq_u64_e32 vcc, 0, v[17:18]
	v_lshrrev_b32_e32 v15, 23, v4
	s_and_b64 vcc, vcc, s[0:1]
	v_add3_u32 v16, v5, v20, v15
	v_subbrev_co_u32_e32 v5, vcc, 0, v4, vcc
	v_add_u32_e32 v17, -1, v16
	v_and_b32_e32 v5, 0xfffff, v5
	v_add_u32_e32 v4, v5, v4
	v_mov_b32_e32 v5, v3
	v_cmp_ne_u32_e32 vcc, 0, v17
                                        ; implicit-def: $vgpr15
	s_and_saveexec_b64 s[0:1], vcc
	s_xor_b64 s[0:1], exec, s[0:1]
; %bb.19:                               ;   in Loop: Header=BB16_15 Depth=1
	v_and_b32_e32 v18, 0x1000000, v4
	v_mov_b32_e32 v19, v3
	v_cmp_eq_u64_e32 vcc, 0, v[18:19]
	v_bfe_u32 v15, v4, 24, 1
	v_lshrrev_b64 v[4:5], v15, v[4:5]
	v_cndmask_b32_e32 v15, v16, v17, vcc
; %bb.20:                               ;   in Loop: Header=BB16_15 Depth=1
	s_andn2_saveexec_b64 s[0:1], s[0:1]
; %bb.21:                               ;   in Loop: Header=BB16_15 Depth=1
	v_bfe_u32 v15, v4, 23, 1
; %bb.22:                               ;   in Loop: Header=BB16_15 Depth=1
	s_or_b64 exec, exec, s[0:1]
	v_lshrrev_b64 v[4:5], 20, v[4:5]
	v_cmp_gt_i32_e32 vcc, 16, v15
	v_cndmask_b32_e32 v5, 0, v5, vcc
	v_cndmask_b32_e32 v4, 7, v4, vcc
	v_cmp_ne_u64_e32 vcc, 0, v[4:5]
	v_cmp_ne_u32_e64 s[0:1], 0, v15
	s_or_b64 s[0:1], s[0:1], vcc
                                        ; implicit-def: $vgpr5
	s_and_saveexec_b64 s[24:25], s[0:1]
	s_xor_b64 s[0:1], exec, s[24:25]
; %bb.23:                               ;   in Loop: Header=BB16_15 Depth=1
	v_min_i32_e32 v5, 15, v15
	v_lshl_or_b32 v1, v5, 3, v1
	v_and_or_b32 v5, v4, 7, v1
                                        ; implicit-def: $vgpr1
; %bb.24:                               ;   in Loop: Header=BB16_15 Depth=1
	s_andn2_saveexec_b64 s[0:1], s[0:1]
; %bb.25:                               ;   in Loop: Header=BB16_15 Depth=1
	v_mov_b32_e32 v5, v1
; %bb.26:                               ;   in Loop: Header=BB16_15 Depth=1
	s_or_b64 exec, exec, s[0:1]
.LBB16_27:                              ;   in Loop: Header=BB16_15 Depth=1
	s_or_b64 exec, exec, s[18:19]
                                        ; implicit-def: $vgpr1
.LBB16_28:                              ;   in Loop: Header=BB16_15 Depth=1
	s_andn2_saveexec_b64 s[0:1], s[16:17]
; %bb.29:                               ;   in Loop: Header=BB16_15 Depth=1
	v_or_b32_e32 v5, 0x7e, v1
; %bb.30:                               ;   in Loop: Header=BB16_15 Depth=1
	s_or_b64 exec, exec, s[0:1]
                                        ; implicit-def: $vgpr4
.LBB16_31:                              ;   in Loop: Header=BB16_15 Depth=1
	s_andn2_saveexec_b64 s[0:1], s[10:11]
	s_cbranch_execz .LBB16_14
; %bb.32:                               ;   in Loop: Header=BB16_15 Depth=1
	v_or_b32_sdwa v5, v4, s22 dst_sel:DWORD dst_unused:UNUSED_PAD src0_sel:BYTE_3 src1_sel:DWORD
	s_branch .LBB16_14
.LBB16_33:
	s_endpgm
	.section	.rodata,"a",@progbits
	.p2align	6, 0x0
	.amdhsa_kernel _ZN4vllm42fused_add_rms_norm_static_fp8_quant_kernelIN3c108BFloat16ELi0ENS1_13Float8_e4m3fnEEENSt9enable_ifIXooeqT0_Li0Entsr12_typeConvertIT_EE6existsEvE4typeEPT1_PS5_iSA_PKS5_PKffii
		.amdhsa_group_segment_fixed_size 68
		.amdhsa_private_segment_fixed_size 0
		.amdhsa_kernarg_size 320
		.amdhsa_user_sgpr_count 6
		.amdhsa_user_sgpr_private_segment_buffer 1
		.amdhsa_user_sgpr_dispatch_ptr 0
		.amdhsa_user_sgpr_queue_ptr 0
		.amdhsa_user_sgpr_kernarg_segment_ptr 1
		.amdhsa_user_sgpr_dispatch_id 0
		.amdhsa_user_sgpr_flat_scratch_init 0
		.amdhsa_user_sgpr_private_segment_size 0
		.amdhsa_uses_dynamic_stack 0
		.amdhsa_system_sgpr_private_segment_wavefront_offset 0
		.amdhsa_system_sgpr_workgroup_id_x 1
		.amdhsa_system_sgpr_workgroup_id_y 0
		.amdhsa_system_sgpr_workgroup_id_z 0
		.amdhsa_system_sgpr_workgroup_info 0
		.amdhsa_system_vgpr_workitem_id 0
		.amdhsa_next_free_vgpr 21
		.amdhsa_next_free_sgpr 26
		.amdhsa_reserve_vcc 1
		.amdhsa_reserve_flat_scratch 0
		.amdhsa_float_round_mode_32 0
		.amdhsa_float_round_mode_16_64 0
		.amdhsa_float_denorm_mode_32 3
		.amdhsa_float_denorm_mode_16_64 3
		.amdhsa_dx10_clamp 1
		.amdhsa_ieee_mode 1
		.amdhsa_fp16_overflow 0
		.amdhsa_exception_fp_ieee_invalid_op 0
		.amdhsa_exception_fp_denorm_src 0
		.amdhsa_exception_fp_ieee_div_zero 0
		.amdhsa_exception_fp_ieee_overflow 0
		.amdhsa_exception_fp_ieee_underflow 0
		.amdhsa_exception_fp_ieee_inexact 0
		.amdhsa_exception_int_div_zero 0
	.end_amdhsa_kernel
	.section	.text._ZN4vllm42fused_add_rms_norm_static_fp8_quant_kernelIN3c108BFloat16ELi0ENS1_13Float8_e4m3fnEEENSt9enable_ifIXooeqT0_Li0Entsr12_typeConvertIT_EE6existsEvE4typeEPT1_PS5_iSA_PKS5_PKffii,"axG",@progbits,_ZN4vllm42fused_add_rms_norm_static_fp8_quant_kernelIN3c108BFloat16ELi0ENS1_13Float8_e4m3fnEEENSt9enable_ifIXooeqT0_Li0Entsr12_typeConvertIT_EE6existsEvE4typeEPT1_PS5_iSA_PKS5_PKffii,comdat
.Lfunc_end16:
	.size	_ZN4vllm42fused_add_rms_norm_static_fp8_quant_kernelIN3c108BFloat16ELi0ENS1_13Float8_e4m3fnEEENSt9enable_ifIXooeqT0_Li0Entsr12_typeConvertIT_EE6existsEvE4typeEPT1_PS5_iSA_PKS5_PKffii, .Lfunc_end16-_ZN4vllm42fused_add_rms_norm_static_fp8_quant_kernelIN3c108BFloat16ELi0ENS1_13Float8_e4m3fnEEENSt9enable_ifIXooeqT0_Li0Entsr12_typeConvertIT_EE6existsEvE4typeEPT1_PS5_iSA_PKS5_PKffii
                                        ; -- End function
	.set _ZN4vllm42fused_add_rms_norm_static_fp8_quant_kernelIN3c108BFloat16ELi0ENS1_13Float8_e4m3fnEEENSt9enable_ifIXooeqT0_Li0Entsr12_typeConvertIT_EE6existsEvE4typeEPT1_PS5_iSA_PKS5_PKffii.num_vgpr, 21
	.set _ZN4vllm42fused_add_rms_norm_static_fp8_quant_kernelIN3c108BFloat16ELi0ENS1_13Float8_e4m3fnEEENSt9enable_ifIXooeqT0_Li0Entsr12_typeConvertIT_EE6existsEvE4typeEPT1_PS5_iSA_PKS5_PKffii.num_agpr, 0
	.set _ZN4vllm42fused_add_rms_norm_static_fp8_quant_kernelIN3c108BFloat16ELi0ENS1_13Float8_e4m3fnEEENSt9enable_ifIXooeqT0_Li0Entsr12_typeConvertIT_EE6existsEvE4typeEPT1_PS5_iSA_PKS5_PKffii.numbered_sgpr, 26
	.set _ZN4vllm42fused_add_rms_norm_static_fp8_quant_kernelIN3c108BFloat16ELi0ENS1_13Float8_e4m3fnEEENSt9enable_ifIXooeqT0_Li0Entsr12_typeConvertIT_EE6existsEvE4typeEPT1_PS5_iSA_PKS5_PKffii.num_named_barrier, 0
	.set _ZN4vllm42fused_add_rms_norm_static_fp8_quant_kernelIN3c108BFloat16ELi0ENS1_13Float8_e4m3fnEEENSt9enable_ifIXooeqT0_Li0Entsr12_typeConvertIT_EE6existsEvE4typeEPT1_PS5_iSA_PKS5_PKffii.private_seg_size, 0
	.set _ZN4vllm42fused_add_rms_norm_static_fp8_quant_kernelIN3c108BFloat16ELi0ENS1_13Float8_e4m3fnEEENSt9enable_ifIXooeqT0_Li0Entsr12_typeConvertIT_EE6existsEvE4typeEPT1_PS5_iSA_PKS5_PKffii.uses_vcc, 1
	.set _ZN4vllm42fused_add_rms_norm_static_fp8_quant_kernelIN3c108BFloat16ELi0ENS1_13Float8_e4m3fnEEENSt9enable_ifIXooeqT0_Li0Entsr12_typeConvertIT_EE6existsEvE4typeEPT1_PS5_iSA_PKS5_PKffii.uses_flat_scratch, 0
	.set _ZN4vllm42fused_add_rms_norm_static_fp8_quant_kernelIN3c108BFloat16ELi0ENS1_13Float8_e4m3fnEEENSt9enable_ifIXooeqT0_Li0Entsr12_typeConvertIT_EE6existsEvE4typeEPT1_PS5_iSA_PKS5_PKffii.has_dyn_sized_stack, 0
	.set _ZN4vllm42fused_add_rms_norm_static_fp8_quant_kernelIN3c108BFloat16ELi0ENS1_13Float8_e4m3fnEEENSt9enable_ifIXooeqT0_Li0Entsr12_typeConvertIT_EE6existsEvE4typeEPT1_PS5_iSA_PKS5_PKffii.has_recursion, 0
	.set _ZN4vllm42fused_add_rms_norm_static_fp8_quant_kernelIN3c108BFloat16ELi0ENS1_13Float8_e4m3fnEEENSt9enable_ifIXooeqT0_Li0Entsr12_typeConvertIT_EE6existsEvE4typeEPT1_PS5_iSA_PKS5_PKffii.has_indirect_call, 0
	.section	.AMDGPU.csdata,"",@progbits
; Kernel info:
; codeLenInByte = 1928
; TotalNumSgprs: 30
; NumVgprs: 21
; ScratchSize: 0
; MemoryBound: 0
; FloatMode: 240
; IeeeMode: 1
; LDSByteSize: 68 bytes/workgroup (compile time only)
; SGPRBlocks: 3
; VGPRBlocks: 5
; NumSGPRsForWavesPerEU: 30
; NumVGPRsForWavesPerEU: 21
; Occupancy: 10
; WaveLimiterHint : 0
; COMPUTE_PGM_RSRC2:SCRATCH_EN: 0
; COMPUTE_PGM_RSRC2:USER_SGPR: 6
; COMPUTE_PGM_RSRC2:TRAP_HANDLER: 0
; COMPUTE_PGM_RSRC2:TGID_X_EN: 1
; COMPUTE_PGM_RSRC2:TGID_Y_EN: 0
; COMPUTE_PGM_RSRC2:TGID_Z_EN: 0
; COMPUTE_PGM_RSRC2:TIDIG_COMP_CNT: 0
	.section	.text._ZN4vllm42fused_add_rms_norm_static_fp8_quant_kernelIN3c108BFloat16ELi0ENS1_15Float8_e4m3fnuzEEENSt9enable_ifIXooeqT0_Li0Entsr12_typeConvertIT_EE6existsEvE4typeEPT1_PS5_iSA_PKS5_PKffii,"axG",@progbits,_ZN4vllm42fused_add_rms_norm_static_fp8_quant_kernelIN3c108BFloat16ELi0ENS1_15Float8_e4m3fnuzEEENSt9enable_ifIXooeqT0_Li0Entsr12_typeConvertIT_EE6existsEvE4typeEPT1_PS5_iSA_PKS5_PKffii,comdat
	.protected	_ZN4vllm42fused_add_rms_norm_static_fp8_quant_kernelIN3c108BFloat16ELi0ENS1_15Float8_e4m3fnuzEEENSt9enable_ifIXooeqT0_Li0Entsr12_typeConvertIT_EE6existsEvE4typeEPT1_PS5_iSA_PKS5_PKffii ; -- Begin function _ZN4vllm42fused_add_rms_norm_static_fp8_quant_kernelIN3c108BFloat16ELi0ENS1_15Float8_e4m3fnuzEEENSt9enable_ifIXooeqT0_Li0Entsr12_typeConvertIT_EE6existsEvE4typeEPT1_PS5_iSA_PKS5_PKffii
	.globl	_ZN4vllm42fused_add_rms_norm_static_fp8_quant_kernelIN3c108BFloat16ELi0ENS1_15Float8_e4m3fnuzEEENSt9enable_ifIXooeqT0_Li0Entsr12_typeConvertIT_EE6existsEvE4typeEPT1_PS5_iSA_PKS5_PKffii
	.p2align	8
	.type	_ZN4vllm42fused_add_rms_norm_static_fp8_quant_kernelIN3c108BFloat16ELi0ENS1_15Float8_e4m3fnuzEEENSt9enable_ifIXooeqT0_Li0Entsr12_typeConvertIT_EE6existsEvE4typeEPT1_PS5_iSA_PKS5_PKffii,@function
_ZN4vllm42fused_add_rms_norm_static_fp8_quant_kernelIN3c108BFloat16ELi0ENS1_15Float8_e4m3fnuzEEENSt9enable_ifIXooeqT0_Li0Entsr12_typeConvertIT_EE6existsEvE4typeEPT1_PS5_iSA_PKS5_PKffii: ; @_ZN4vllm42fused_add_rms_norm_static_fp8_quant_kernelIN3c108BFloat16ELi0ENS1_15Float8_e4m3fnuzEEENSt9enable_ifIXooeqT0_Li0Entsr12_typeConvertIT_EE6existsEvE4typeEPT1_PS5_iSA_PKS5_PKffii
; %bb.0:
	s_load_dword s20, s[4:5], 0x38
	s_load_dwordx2 s[12:13], s[4:5], 0x18
                                        ; implicit-def: $sgpr7
	s_waitcnt lgkmcnt(0)
	v_cmp_gt_i32_e64 s[0:1], s20, v0
	v_cmp_le_i32_e32 vcc, s20, v0
	s_and_saveexec_b64 s[2:3], vcc
	s_xor_b64 s[2:3], exec, s[2:3]
	s_cbranch_execz .LBB17_2
; %bb.1:
	s_load_dword s7, s[4:5], 0x4c
	s_waitcnt lgkmcnt(0)
	s_and_b32 s7, s7, 0xffff
.LBB17_2:
	s_or_saveexec_b64 s[2:3], s[2:3]
	s_load_dwordx2 s[14:15], s[4:5], 0x0
	s_load_dwordx4 s[8:11], s[4:5], 0x20
	v_mov_b32_e32 v3, 0
	v_mov_b32_e32 v1, s6
	v_mov_b32_e32 v6, s7
	s_xor_b64 exec, exec, s[2:3]
	s_cbranch_execz .LBB17_6
; %bb.3:
	s_load_dword s22, s[4:5], 0x10
	s_load_dword s7, s[4:5], 0x4c
	s_load_dwordx2 s[16:17], s[4:5], 0x8
	s_mul_i32 s21, s20, s6
	v_mov_b32_e32 v2, 0
	s_waitcnt lgkmcnt(0)
	s_mul_i32 s22, s22, s6
	s_and_b32 s7, s7, 0xffff
	s_mov_b64 s[18:19], 0
	v_mov_b32_e32 v4, s17
	v_mov_b32_e32 v5, s13
	s_movk_i32 s17, 0x7fff
	v_mov_b32_e32 v6, 0x7fc0
	v_mov_b32_e32 v3, 0
	;; [unrolled: 1-line block ×3, first 2 shown]
.LBB17_4:                               ; =>This Inner Loop Header: Depth=1
	v_add_u32_e32 v1, s22, v7
	v_lshlrev_b64 v[8:9], 1, v[1:2]
	v_add_u32_e32 v1, s21, v7
	v_lshlrev_b64 v[10:11], 1, v[1:2]
	v_add_co_u32_e32 v8, vcc, s16, v8
	v_addc_co_u32_e32 v9, vcc, v4, v9, vcc
	v_add_co_u32_e32 v10, vcc, s12, v10
	v_addc_co_u32_e32 v11, vcc, v5, v11, vcc
	global_load_ushort v1, v[8:9], off
	global_load_ushort v12, v[10:11], off
	v_add_u32_e32 v7, s7, v7
	v_cmp_le_i32_e32 vcc, s20, v7
	s_or_b64 s[18:19], vcc, s[18:19]
	s_waitcnt vmcnt(1)
	v_lshlrev_b32_e32 v1, 16, v1
	s_waitcnt vmcnt(0)
	v_lshlrev_b32_e32 v8, 16, v12
	v_add_f32_e32 v1, v1, v8
	v_bfe_u32 v8, v1, 16, 1
	v_cmp_o_f32_e32 vcc, v1, v1
	v_add3_u32 v1, v1, v8, s17
	v_cndmask_b32_sdwa v1, v6, v1, vcc dst_sel:DWORD dst_unused:UNUSED_PAD src0_sel:DWORD src1_sel:WORD_1
	v_lshlrev_b32_e32 v8, 16, v1
	v_fmac_f32_e32 v3, v8, v8
	global_store_short v[10:11], v1, off
	s_andn2_b64 exec, exec, s[18:19]
	s_cbranch_execnz .LBB17_4
; %bb.5:
	s_or_b64 exec, exec, s[18:19]
	v_mov_b32_e32 v1, s6
	v_mov_b32_e32 v6, s7
.LBB17_6:
	s_or_b64 exec, exec, s[2:3]
	v_mbcnt_lo_u32_b32 v2, -1, 0
	v_mbcnt_hi_u32_b32 v2, -1, v2
	v_and_b32_e32 v4, 63, v2
	v_cmp_ne_u32_e32 vcc, 63, v4
	v_addc_co_u32_e32 v5, vcc, 0, v2, vcc
	v_lshlrev_b32_e32 v5, 2, v5
	ds_bpermute_b32 v5, v5, v3
	v_and_b32_e32 v7, 0x3c0, v0
	v_sub_u32_e64 v7, v6, v7 clamp
	v_add_u32_e32 v8, 1, v2
	v_cmp_lt_u32_e32 vcc, v8, v7
	s_waitcnt lgkmcnt(0)
	v_add_f32_e32 v5, v3, v5
	v_cndmask_b32_e32 v3, v3, v5, vcc
	v_cmp_gt_u32_e32 vcc, 62, v4
	v_cndmask_b32_e64 v5, 0, 2, vcc
	v_add_lshl_u32 v5, v5, v2, 2
	ds_bpermute_b32 v5, v5, v3
	v_add_u32_e32 v8, 2, v2
	v_cmp_lt_u32_e32 vcc, v8, v7
	v_add_u32_e32 v8, 4, v2
	s_waitcnt lgkmcnt(0)
	v_add_f32_e32 v5, v3, v5
	v_cndmask_b32_e32 v3, v3, v5, vcc
	v_cmp_gt_u32_e32 vcc, 60, v4
	v_cndmask_b32_e64 v5, 0, 4, vcc
	v_add_lshl_u32 v5, v5, v2, 2
	ds_bpermute_b32 v5, v5, v3
	v_cmp_lt_u32_e32 vcc, v8, v7
	v_add_u32_e32 v8, 8, v2
	s_waitcnt lgkmcnt(0)
	v_add_f32_e32 v5, v3, v5
	v_cndmask_b32_e32 v3, v3, v5, vcc
	v_cmp_gt_u32_e32 vcc, 56, v4
	v_cndmask_b32_e64 v5, 0, 8, vcc
	v_add_lshl_u32 v5, v5, v2, 2
	ds_bpermute_b32 v5, v5, v3
	;; [unrolled: 9-line block ×3, first 2 shown]
	v_add_u32_e32 v5, 16, v2
	v_cmp_lt_u32_e32 vcc, v5, v7
	s_waitcnt lgkmcnt(0)
	v_add_f32_e32 v4, v3, v4
	v_cndmask_b32_e32 v4, v3, v4, vcc
	v_lshlrev_b32_e32 v3, 2, v2
	v_or_b32_e32 v5, 0x80, v3
	ds_bpermute_b32 v5, v5, v4
	v_cmp_lt_u32_e32 vcc, v8, v7
	s_waitcnt lgkmcnt(0)
	v_add_f32_e32 v5, v4, v5
	v_cndmask_b32_e32 v4, v4, v5, vcc
	v_cmp_eq_u32_e32 vcc, 0, v2
	s_and_saveexec_b64 s[2:3], vcc
; %bb.7:
	v_lshrrev_b32_e32 v5, 4, v0
	v_and_b32_e32 v5, 60, v5
	ds_write_b32 v5, v4
; %bb.8:
	s_or_b64 exec, exec, s[2:3]
	v_cmp_gt_u32_e32 vcc, 16, v0
	s_waitcnt vmcnt(0) lgkmcnt(0)
	s_barrier
	s_and_saveexec_b64 s[6:7], vcc
	s_cbranch_execz .LBB17_10
; %bb.9:
	ds_read_b32 v4, v3
	v_and_b32_e32 v5, 15, v2
	v_cmp_ne_u32_e32 vcc, 15, v5
	v_addc_co_u32_e32 v7, vcc, 0, v2, vcc
	v_lshlrev_b32_e32 v7, 2, v7
	s_waitcnt lgkmcnt(0)
	ds_bpermute_b32 v7, v7, v4
	v_add_u32_e32 v8, 63, v6
	v_lshrrev_b32_e32 v8, 6, v8
	v_add_u32_e32 v9, 1, v5
	v_cmp_gt_u32_e64 s[2:3], 14, v5
	s_waitcnt lgkmcnt(0)
	v_add_f32_e32 v7, v4, v7
	v_cmp_lt_u32_e32 vcc, v9, v8
	v_cndmask_b32_e64 v9, 0, 2, s[2:3]
	v_cndmask_b32_e32 v7, v4, v7, vcc
	v_add_lshl_u32 v9, v9, v2, 2
	ds_bpermute_b32 v9, v9, v7
	v_add_u32_e32 v10, 2, v5
	v_cmp_lt_u32_e64 s[2:3], v10, v8
	v_or_b32_e32 v3, 32, v3
	s_waitcnt lgkmcnt(0)
	v_add_f32_e32 v9, v7, v9
	v_cndmask_b32_e64 v7, v7, v9, s[2:3]
	v_cmp_gt_u32_e64 s[2:3], 12, v5
	v_cndmask_b32_e64 v9, 0, 4, s[2:3]
	v_add_lshl_u32 v2, v9, v2, 2
	ds_bpermute_b32 v2, v2, v7
	v_add_u32_e32 v9, 4, v5
	v_cmp_lt_u32_e64 s[2:3], v9, v8
	v_add_u32_e32 v5, 8, v5
	s_waitcnt lgkmcnt(0)
	v_add_f32_e32 v2, v7, v2
	v_cndmask_b32_e64 v2, v7, v2, s[2:3]
	ds_bpermute_b32 v3, v3, v2
	v_cmp_lt_u32_e64 s[2:3], v5, v8
	s_waitcnt lgkmcnt(0)
	v_add_f32_e32 v3, v2, v3
	v_cndmask_b32_e64 v2, v2, v3, s[2:3]
	v_cndmask_b32_e32 v4, v4, v2, vcc
.LBB17_10:
	s_or_b64 exec, exec, s[6:7]
	v_cmp_eq_u32_e32 vcc, 0, v0
	s_and_saveexec_b64 s[2:3], vcc
	s_cbranch_execz .LBB17_12
; %bb.11:
	v_cvt_f32_i32_e32 v2, s20
	s_load_dword s4, s[4:5], 0x30
	s_mov_b32 s5, 0x800000
	v_div_scale_f32 v3, s[6:7], v2, v2, v4
	v_div_scale_f32 v5, vcc, v4, v2, v4
	v_rcp_f32_e32 v7, v3
	v_fma_f32 v8, -v3, v7, 1.0
	v_fmac_f32_e32 v7, v8, v7
	v_mul_f32_e32 v8, v5, v7
	v_fma_f32 v9, -v3, v8, v5
	v_fmac_f32_e32 v8, v9, v7
	v_fma_f32 v3, -v3, v8, v5
	v_div_fmas_f32 v3, v3, v7, v8
	v_div_fixup_f32 v2, v3, v2, v4
	s_waitcnt lgkmcnt(0)
	v_add_f32_e32 v2, s4, v2
	v_mul_f32_e32 v3, 0x4b800000, v2
	v_cmp_gt_f32_e32 vcc, s5, v2
	v_cndmask_b32_e32 v2, v2, v3, vcc
	v_rsq_f32_e32 v2, v2
	v_mul_f32_e32 v3, 0x45800000, v2
	v_cndmask_b32_e32 v2, v2, v3, vcc
	v_mov_b32_e32 v3, 0
	ds_write_b32 v3, v2 offset:64
.LBB17_12:
	s_or_b64 exec, exec, s[2:3]
	s_waitcnt lgkmcnt(0)
	s_barrier
	s_and_saveexec_b64 s[2:3], s[0:1]
	s_cbranch_execz .LBB17_27
; %bb.13:
	s_load_dword s10, s[10:11], 0x0
	v_mul_lo_u32 v7, s20, v1
	s_mov_b64 s[2:3], 0
	v_mov_b32_e32 v8, s13
	s_movk_i32 s13, 0x7fff
	s_waitcnt lgkmcnt(0)
	v_div_scale_f32 v2, s[0:1], s10, s10, 1.0
	v_div_scale_f32 v3, vcc, 1.0, s10, 1.0
	v_mov_b32_e32 v9, s9
	v_mov_b32_e32 v10, 0x7fc00000
	s_mov_b64 s[4:5], 0x7f800000
	s_mov_b64 s[6:7], 0x43700001
	s_movk_i32 s9, 0x78
	s_movk_i32 s21, 0x80
	;; [unrolled: 1-line block ×3, first 2 shown]
	v_mov_b32_e32 v12, 0x77
	v_mov_b32_e32 v14, 0xffffff8a
	v_rcp_f32_e32 v4, v2
	v_fma_f32 v1, -v2, v4, 1.0
	v_fmac_f32_e32 v4, v1, v4
	v_mul_f32_e32 v1, v3, v4
	v_fma_f32 v5, -v2, v1, v3
	v_fmac_f32_e32 v1, v5, v4
	v_fma_f32 v2, -v2, v1, v3
	v_div_fmas_f32 v1, v2, v4, v1
	v_mov_b32_e32 v3, 0
	ds_read_b32 v11, v3 offset:64
	v_div_fixup_f32 v13, v1, s10, 1.0
	s_branch .LBB17_16
.LBB17_14:                              ;   in Loop: Header=BB17_16 Depth=1
	s_or_b64 exec, exec, s[0:1]
.LBB17_15:                              ;   in Loop: Header=BB17_16 Depth=1
	s_or_b64 exec, exec, s[10:11]
	v_mov_b32_e32 v5, s15
	v_add_co_u32_e32 v1, vcc, s14, v2
	v_addc_co_u32_e32 v2, vcc, 0, v5, vcc
	v_add_u32_e32 v0, v0, v6
	v_cmp_le_i32_e32 vcc, s20, v0
	s_or_b64 s[2:3], vcc, s[2:3]
	global_store_byte v[1:2], v4, off
	s_andn2_b64 exec, exec, s[2:3]
	s_cbranch_execz .LBB17_27
.LBB17_16:                              ; =>This Inner Loop Header: Depth=1
	v_add_u32_e32 v2, v7, v0
	v_lshlrev_b64 v[4:5], 1, v[2:3]
	v_ashrrev_i32_e32 v1, 31, v0
	v_add_co_u32_e32 v4, vcc, s12, v4
	v_addc_co_u32_e32 v5, vcc, v8, v5, vcc
	global_load_ushort v15, v[4:5], off
	v_lshlrev_b64 v[4:5], 1, v[0:1]
	v_add_co_u32_e32 v4, vcc, s8, v4
	v_addc_co_u32_e32 v5, vcc, v9, v5, vcc
	global_load_ushort v1, v[4:5], off
	s_waitcnt vmcnt(1)
	v_lshlrev_b32_e32 v4, 16, v15
	s_waitcnt lgkmcnt(0)
	v_mul_f32_e32 v4, v11, v4
	v_bfe_u32 v5, v4, 16, 1
	v_add3_u32 v5, v4, v5, s13
	v_and_b32_e32 v5, 0xffff0000, v5
	v_cmp_o_f32_e32 vcc, v4, v4
	v_cndmask_b32_e32 v4, v10, v5, vcc
	s_waitcnt vmcnt(0)
	v_lshlrev_b32_e32 v1, 16, v1
	v_mul_f32_e32 v1, v4, v1
	v_bfe_u32 v4, v1, 16, 1
	v_add3_u32 v4, v1, v4, s13
	v_and_b32_e32 v4, 0xffff0000, v4
	v_cmp_o_f32_e32 vcc, v1, v1
	v_cndmask_b32_e32 v1, v10, v4, vcc
	v_mul_f32_e32 v1, v13, v1
	v_min_f32_e32 v1, 0x43600000, v1
	v_max_f32_e32 v1, 0xc3600000, v1
	v_and_b32_e32 v4, 0x7f800000, v1
	v_mov_b32_e32 v5, v3
	v_cmp_ne_u64_e32 vcc, s[4:5], v[4:5]
	v_mov_b32_e32 v4, 0x80
	s_and_saveexec_b64 s[10:11], vcc
	s_cbranch_execz .LBB17_15
; %bb.17:                               ;   in Loop: Header=BB17_16 Depth=1
	v_and_b32_e32 v4, 0x7fffffff, v1
	v_mov_b32_e32 v5, v3
	v_cmp_gt_u64_e32 vcc, s[6:7], v[4:5]
                                        ; implicit-def: $vgpr4
	s_and_saveexec_b64 s[0:1], vcc
	s_xor_b64 s[16:17], exec, s[0:1]
	s_cbranch_execz .LBB17_25
; %bb.18:                               ;   in Loop: Header=BB17_16 Depth=1
	v_cmp_ne_u32_e32 vcc, 0, v1
	v_mov_b32_e32 v4, 0
	s_and_saveexec_b64 s[18:19], vcc
	s_cbranch_execz .LBB17_24
; %bb.19:                               ;   in Loop: Header=BB17_16 Depth=1
	v_bfe_u32 v19, v1, 23, 8
	v_sub_u32_e64 v5, s9, v19 clamp
	v_cmp_eq_u32_e32 vcc, 0, v19
	v_and_b32_e32 v4, 0x7fffff, v1
	v_cndmask_b32_e32 v20, v5, v12, vcc
	v_or_b32_e32 v15, 0x800000, v4
	v_add_u32_e32 v5, 20, v20
	v_cndmask_b32_e32 v4, v15, v4, vcc
	v_lshlrev_b64 v[15:16], v5, -1
	v_mov_b32_e32 v5, v3
	v_add_u32_e32 v17, 19, v20
	v_lshlrev_b64 v[17:18], v17, 1
	v_bfi_b32 v15, v15, 0, v4
	v_lshrrev_b64 v[4:5], v20, v[4:5]
	v_bfi_b32 v16, v16, 0, 0
	v_cmp_eq_u64_e64 s[0:1], v[15:16], v[17:18]
	v_add_u32_e32 v5, 0xffffff89, v19
	v_and_b32_e32 v17, 0x100000, v4
	v_mov_b32_e32 v18, v3
	v_cndmask_b32_e32 v5, v5, v14, vcc
	v_cmp_eq_u64_e32 vcc, 0, v[17:18]
	v_lshrrev_b32_e32 v15, 23, v4
	s_and_b64 vcc, vcc, s[0:1]
	v_add3_u32 v16, v5, v20, v15
	v_subbrev_co_u32_e32 v5, vcc, 0, v4, vcc
	v_add_u32_e32 v17, -1, v16
	v_and_b32_e32 v5, 0xfffff, v5
	v_add_u32_e32 v4, v5, v4
	v_mov_b32_e32 v5, v3
	v_cmp_ne_u32_e32 vcc, 0, v17
                                        ; implicit-def: $vgpr15
	s_and_saveexec_b64 s[0:1], vcc
	s_xor_b64 s[0:1], exec, s[0:1]
; %bb.20:                               ;   in Loop: Header=BB17_16 Depth=1
	v_and_b32_e32 v18, 0x1000000, v4
	v_mov_b32_e32 v19, v3
	v_cmp_eq_u64_e32 vcc, 0, v[18:19]
	v_bfe_u32 v15, v4, 24, 1
	v_lshrrev_b64 v[4:5], v15, v[4:5]
	v_cndmask_b32_e32 v15, v16, v17, vcc
; %bb.21:                               ;   in Loop: Header=BB17_16 Depth=1
	s_andn2_saveexec_b64 s[0:1], s[0:1]
; %bb.22:                               ;   in Loop: Header=BB17_16 Depth=1
	v_bfe_u32 v15, v4, 23, 1
; %bb.23:                               ;   in Loop: Header=BB17_16 Depth=1
	s_or_b64 exec, exec, s[0:1]
	v_lshrrev_b64 v[4:5], 20, v[4:5]
	v_cmp_gt_i32_e32 vcc, 16, v15
	v_cndmask_b32_e32 v5, 0, v5, vcc
	v_cndmask_b32_e32 v4, 7, v4, vcc
	v_and_b32_sdwa v1, v1, s21 dst_sel:DWORD dst_unused:UNUSED_PAD src0_sel:BYTE_3 src1_sel:DWORD
	v_min_i32_e32 v16, 15, v15
	v_cmp_eq_u64_e64 s[0:1], 0, v[4:5]
	v_cmp_eq_u32_e32 vcc, 0, v15
	v_lshl_or_b32 v1, v16, 3, v1
	v_and_or_b32 v1, v4, 7, v1
	s_and_b64 s[0:1], vcc, s[0:1]
	v_cndmask_b32_e64 v4, v1, 0, s[0:1]
.LBB17_24:                              ;   in Loop: Header=BB17_16 Depth=1
	s_or_b64 exec, exec, s[18:19]
                                        ; implicit-def: $vgpr1
.LBB17_25:                              ;   in Loop: Header=BB17_16 Depth=1
	s_andn2_saveexec_b64 s[0:1], s[16:17]
	s_cbranch_execz .LBB17_14
; %bb.26:                               ;   in Loop: Header=BB17_16 Depth=1
	v_or_b32_sdwa v4, v1, s22 dst_sel:DWORD dst_unused:UNUSED_PAD src0_sel:BYTE_3 src1_sel:DWORD
	s_branch .LBB17_14
.LBB17_27:
	s_endpgm
	.section	.rodata,"a",@progbits
	.p2align	6, 0x0
	.amdhsa_kernel _ZN4vllm42fused_add_rms_norm_static_fp8_quant_kernelIN3c108BFloat16ELi0ENS1_15Float8_e4m3fnuzEEENSt9enable_ifIXooeqT0_Li0Entsr12_typeConvertIT_EE6existsEvE4typeEPT1_PS5_iSA_PKS5_PKffii
		.amdhsa_group_segment_fixed_size 68
		.amdhsa_private_segment_fixed_size 0
		.amdhsa_kernarg_size 320
		.amdhsa_user_sgpr_count 6
		.amdhsa_user_sgpr_private_segment_buffer 1
		.amdhsa_user_sgpr_dispatch_ptr 0
		.amdhsa_user_sgpr_queue_ptr 0
		.amdhsa_user_sgpr_kernarg_segment_ptr 1
		.amdhsa_user_sgpr_dispatch_id 0
		.amdhsa_user_sgpr_flat_scratch_init 0
		.amdhsa_user_sgpr_private_segment_size 0
		.amdhsa_uses_dynamic_stack 0
		.amdhsa_system_sgpr_private_segment_wavefront_offset 0
		.amdhsa_system_sgpr_workgroup_id_x 1
		.amdhsa_system_sgpr_workgroup_id_y 0
		.amdhsa_system_sgpr_workgroup_id_z 0
		.amdhsa_system_sgpr_workgroup_info 0
		.amdhsa_system_vgpr_workitem_id 0
		.amdhsa_next_free_vgpr 21
		.amdhsa_next_free_sgpr 23
		.amdhsa_reserve_vcc 1
		.amdhsa_reserve_flat_scratch 0
		.amdhsa_float_round_mode_32 0
		.amdhsa_float_round_mode_16_64 0
		.amdhsa_float_denorm_mode_32 3
		.amdhsa_float_denorm_mode_16_64 3
		.amdhsa_dx10_clamp 1
		.amdhsa_ieee_mode 1
		.amdhsa_fp16_overflow 0
		.amdhsa_exception_fp_ieee_invalid_op 0
		.amdhsa_exception_fp_denorm_src 0
		.amdhsa_exception_fp_ieee_div_zero 0
		.amdhsa_exception_fp_ieee_overflow 0
		.amdhsa_exception_fp_ieee_underflow 0
		.amdhsa_exception_fp_ieee_inexact 0
		.amdhsa_exception_int_div_zero 0
	.end_amdhsa_kernel
	.section	.text._ZN4vllm42fused_add_rms_norm_static_fp8_quant_kernelIN3c108BFloat16ELi0ENS1_15Float8_e4m3fnuzEEENSt9enable_ifIXooeqT0_Li0Entsr12_typeConvertIT_EE6existsEvE4typeEPT1_PS5_iSA_PKS5_PKffii,"axG",@progbits,_ZN4vllm42fused_add_rms_norm_static_fp8_quant_kernelIN3c108BFloat16ELi0ENS1_15Float8_e4m3fnuzEEENSt9enable_ifIXooeqT0_Li0Entsr12_typeConvertIT_EE6existsEvE4typeEPT1_PS5_iSA_PKS5_PKffii,comdat
.Lfunc_end17:
	.size	_ZN4vllm42fused_add_rms_norm_static_fp8_quant_kernelIN3c108BFloat16ELi0ENS1_15Float8_e4m3fnuzEEENSt9enable_ifIXooeqT0_Li0Entsr12_typeConvertIT_EE6existsEvE4typeEPT1_PS5_iSA_PKS5_PKffii, .Lfunc_end17-_ZN4vllm42fused_add_rms_norm_static_fp8_quant_kernelIN3c108BFloat16ELi0ENS1_15Float8_e4m3fnuzEEENSt9enable_ifIXooeqT0_Li0Entsr12_typeConvertIT_EE6existsEvE4typeEPT1_PS5_iSA_PKS5_PKffii
                                        ; -- End function
	.set _ZN4vllm42fused_add_rms_norm_static_fp8_quant_kernelIN3c108BFloat16ELi0ENS1_15Float8_e4m3fnuzEEENSt9enable_ifIXooeqT0_Li0Entsr12_typeConvertIT_EE6existsEvE4typeEPT1_PS5_iSA_PKS5_PKffii.num_vgpr, 21
	.set _ZN4vllm42fused_add_rms_norm_static_fp8_quant_kernelIN3c108BFloat16ELi0ENS1_15Float8_e4m3fnuzEEENSt9enable_ifIXooeqT0_Li0Entsr12_typeConvertIT_EE6existsEvE4typeEPT1_PS5_iSA_PKS5_PKffii.num_agpr, 0
	.set _ZN4vllm42fused_add_rms_norm_static_fp8_quant_kernelIN3c108BFloat16ELi0ENS1_15Float8_e4m3fnuzEEENSt9enable_ifIXooeqT0_Li0Entsr12_typeConvertIT_EE6existsEvE4typeEPT1_PS5_iSA_PKS5_PKffii.numbered_sgpr, 23
	.set _ZN4vllm42fused_add_rms_norm_static_fp8_quant_kernelIN3c108BFloat16ELi0ENS1_15Float8_e4m3fnuzEEENSt9enable_ifIXooeqT0_Li0Entsr12_typeConvertIT_EE6existsEvE4typeEPT1_PS5_iSA_PKS5_PKffii.num_named_barrier, 0
	.set _ZN4vllm42fused_add_rms_norm_static_fp8_quant_kernelIN3c108BFloat16ELi0ENS1_15Float8_e4m3fnuzEEENSt9enable_ifIXooeqT0_Li0Entsr12_typeConvertIT_EE6existsEvE4typeEPT1_PS5_iSA_PKS5_PKffii.private_seg_size, 0
	.set _ZN4vllm42fused_add_rms_norm_static_fp8_quant_kernelIN3c108BFloat16ELi0ENS1_15Float8_e4m3fnuzEEENSt9enable_ifIXooeqT0_Li0Entsr12_typeConvertIT_EE6existsEvE4typeEPT1_PS5_iSA_PKS5_PKffii.uses_vcc, 1
	.set _ZN4vllm42fused_add_rms_norm_static_fp8_quant_kernelIN3c108BFloat16ELi0ENS1_15Float8_e4m3fnuzEEENSt9enable_ifIXooeqT0_Li0Entsr12_typeConvertIT_EE6existsEvE4typeEPT1_PS5_iSA_PKS5_PKffii.uses_flat_scratch, 0
	.set _ZN4vllm42fused_add_rms_norm_static_fp8_quant_kernelIN3c108BFloat16ELi0ENS1_15Float8_e4m3fnuzEEENSt9enable_ifIXooeqT0_Li0Entsr12_typeConvertIT_EE6existsEvE4typeEPT1_PS5_iSA_PKS5_PKffii.has_dyn_sized_stack, 0
	.set _ZN4vllm42fused_add_rms_norm_static_fp8_quant_kernelIN3c108BFloat16ELi0ENS1_15Float8_e4m3fnuzEEENSt9enable_ifIXooeqT0_Li0Entsr12_typeConvertIT_EE6existsEvE4typeEPT1_PS5_iSA_PKS5_PKffii.has_recursion, 0
	.set _ZN4vllm42fused_add_rms_norm_static_fp8_quant_kernelIN3c108BFloat16ELi0ENS1_15Float8_e4m3fnuzEEENSt9enable_ifIXooeqT0_Li0Entsr12_typeConvertIT_EE6existsEvE4typeEPT1_PS5_iSA_PKS5_PKffii.has_indirect_call, 0
	.section	.AMDGPU.csdata,"",@progbits
; Kernel info:
; codeLenInByte = 1908
; TotalNumSgprs: 27
; NumVgprs: 21
; ScratchSize: 0
; MemoryBound: 0
; FloatMode: 240
; IeeeMode: 1
; LDSByteSize: 68 bytes/workgroup (compile time only)
; SGPRBlocks: 3
; VGPRBlocks: 5
; NumSGPRsForWavesPerEU: 27
; NumVGPRsForWavesPerEU: 21
; Occupancy: 10
; WaveLimiterHint : 0
; COMPUTE_PGM_RSRC2:SCRATCH_EN: 0
; COMPUTE_PGM_RSRC2:USER_SGPR: 6
; COMPUTE_PGM_RSRC2:TRAP_HANDLER: 0
; COMPUTE_PGM_RSRC2:TGID_X_EN: 1
; COMPUTE_PGM_RSRC2:TGID_Y_EN: 0
; COMPUTE_PGM_RSRC2:TGID_Z_EN: 0
; COMPUTE_PGM_RSRC2:TIDIG_COMP_CNT: 0
	.section	.AMDGPU.gpr_maximums,"",@progbits
	.set amdgpu.max_num_vgpr, 0
	.set amdgpu.max_num_agpr, 0
	.set amdgpu.max_num_sgpr, 0
	.section	.AMDGPU.csdata,"",@progbits
	.type	__hip_cuid_f080635010ae6ff0,@object ; @__hip_cuid_f080635010ae6ff0
	.section	.bss,"aw",@nobits
	.globl	__hip_cuid_f080635010ae6ff0
__hip_cuid_f080635010ae6ff0:
	.byte	0                               ; 0x0
	.size	__hip_cuid_f080635010ae6ff0, 1

	.ident	"AMD clang version 22.0.0git (https://github.com/RadeonOpenCompute/llvm-project roc-7.2.4 26084 f58b06dce1f9c15707c5f808fd002e18c2accf7e)"
	.section	".note.GNU-stack","",@progbits
	.addrsig
	.addrsig_sym __hip_cuid_f080635010ae6ff0
	.amdgpu_metadata
---
amdhsa.kernels:
  - .args:
      - .actual_access:  write_only
        .address_space:  global
        .offset:         0
        .size:           8
        .value_kind:     global_buffer
      - .actual_access:  read_only
        .address_space:  global
        .offset:         8
        .size:           8
        .value_kind:     global_buffer
      - .offset:         16
        .size:           4
        .value_kind:     by_value
      - .actual_access:  read_only
        .address_space:  global
        .offset:         24
        .size:           8
        .value_kind:     global_buffer
      - .actual_access:  read_only
        .address_space:  global
        .offset:         32
        .size:           8
        .value_kind:     global_buffer
      - .offset:         40
        .size:           4
        .value_kind:     by_value
      - .offset:         44
        .size:           4
        .value_kind:     by_value
      - .offset:         48
        .size:           4
        .value_kind:     by_value
      - .offset:         56
        .size:           4
        .value_kind:     hidden_block_count_x
      - .offset:         60
        .size:           4
        .value_kind:     hidden_block_count_y
      - .offset:         64
        .size:           4
        .value_kind:     hidden_block_count_z
      - .offset:         68
        .size:           2
        .value_kind:     hidden_group_size_x
      - .offset:         70
        .size:           2
        .value_kind:     hidden_group_size_y
      - .offset:         72
        .size:           2
        .value_kind:     hidden_group_size_z
      - .offset:         74
        .size:           2
        .value_kind:     hidden_remainder_x
      - .offset:         76
        .size:           2
        .value_kind:     hidden_remainder_y
      - .offset:         78
        .size:           2
        .value_kind:     hidden_remainder_z
      - .offset:         96
        .size:           8
        .value_kind:     hidden_global_offset_x
      - .offset:         104
        .size:           8
        .value_kind:     hidden_global_offset_y
      - .offset:         112
        .size:           8
        .value_kind:     hidden_global_offset_z
      - .offset:         120
        .size:           2
        .value_kind:     hidden_grid_dims
    .group_segment_fixed_size: 68
    .kernarg_segment_align: 8
    .kernarg_segment_size: 312
    .language:       OpenCL C
    .language_version:
      - 2
      - 0
    .max_flat_workgroup_size: 1024
    .name:           _ZN4vllm32rms_norm_static_fp8_quant_kernelIfN3c1013Float8_e4m3fnEEEvPT0_PKT_iS7_PKffii
    .private_segment_fixed_size: 0
    .sgpr_count:     28
    .sgpr_spill_count: 0
    .symbol:         _ZN4vllm32rms_norm_static_fp8_quant_kernelIfN3c1013Float8_e4m3fnEEEvPT0_PKT_iS7_PKffii.kd
    .uniform_work_group_size: 1
    .uses_dynamic_stack: false
    .vgpr_count:     20
    .vgpr_spill_count: 0
    .wavefront_size: 64
  - .args:
      - .actual_access:  write_only
        .address_space:  global
        .offset:         0
        .size:           8
        .value_kind:     global_buffer
      - .actual_access:  read_only
        .address_space:  global
        .offset:         8
        .size:           8
        .value_kind:     global_buffer
      - .offset:         16
        .size:           4
        .value_kind:     by_value
      - .actual_access:  read_only
        .address_space:  global
        .offset:         24
        .size:           8
        .value_kind:     global_buffer
      - .actual_access:  read_only
        .address_space:  global
        .offset:         32
        .size:           8
        .value_kind:     global_buffer
      - .offset:         40
        .size:           4
        .value_kind:     by_value
      - .offset:         44
        .size:           4
        .value_kind:     by_value
      - .offset:         48
        .size:           4
        .value_kind:     by_value
      - .offset:         56
        .size:           4
        .value_kind:     hidden_block_count_x
      - .offset:         60
        .size:           4
        .value_kind:     hidden_block_count_y
      - .offset:         64
        .size:           4
        .value_kind:     hidden_block_count_z
      - .offset:         68
        .size:           2
        .value_kind:     hidden_group_size_x
      - .offset:         70
        .size:           2
        .value_kind:     hidden_group_size_y
      - .offset:         72
        .size:           2
        .value_kind:     hidden_group_size_z
      - .offset:         74
        .size:           2
        .value_kind:     hidden_remainder_x
      - .offset:         76
        .size:           2
        .value_kind:     hidden_remainder_y
      - .offset:         78
        .size:           2
        .value_kind:     hidden_remainder_z
      - .offset:         96
        .size:           8
        .value_kind:     hidden_global_offset_x
      - .offset:         104
        .size:           8
        .value_kind:     hidden_global_offset_y
      - .offset:         112
        .size:           8
        .value_kind:     hidden_global_offset_z
      - .offset:         120
        .size:           2
        .value_kind:     hidden_grid_dims
    .group_segment_fixed_size: 68
    .kernarg_segment_align: 8
    .kernarg_segment_size: 312
    .language:       OpenCL C
    .language_version:
      - 2
      - 0
    .max_flat_workgroup_size: 1024
    .name:           _ZN4vllm32rms_norm_static_fp8_quant_kernelIfN3c1015Float8_e4m3fnuzEEEvPT0_PKT_iS7_PKffii
    .private_segment_fixed_size: 0
    .sgpr_count:     26
    .sgpr_spill_count: 0
    .symbol:         _ZN4vllm32rms_norm_static_fp8_quant_kernelIfN3c1015Float8_e4m3fnuzEEEvPT0_PKT_iS7_PKffii.kd
    .uniform_work_group_size: 1
    .uses_dynamic_stack: false
    .vgpr_count:     20
    .vgpr_spill_count: 0
    .wavefront_size: 64
  - .args:
      - .actual_access:  write_only
        .address_space:  global
        .offset:         0
        .size:           8
        .value_kind:     global_buffer
      - .actual_access:  read_only
        .address_space:  global
        .offset:         8
        .size:           8
        .value_kind:     global_buffer
      - .offset:         16
        .size:           4
        .value_kind:     by_value
      - .actual_access:  read_only
        .address_space:  global
        .offset:         24
        .size:           8
        .value_kind:     global_buffer
      - .actual_access:  read_only
        .address_space:  global
        .offset:         32
        .size:           8
        .value_kind:     global_buffer
      - .offset:         40
        .size:           4
        .value_kind:     by_value
      - .offset:         44
        .size:           4
        .value_kind:     by_value
      - .offset:         48
        .size:           4
        .value_kind:     by_value
      - .offset:         56
        .size:           4
        .value_kind:     hidden_block_count_x
      - .offset:         60
        .size:           4
        .value_kind:     hidden_block_count_y
      - .offset:         64
        .size:           4
        .value_kind:     hidden_block_count_z
      - .offset:         68
        .size:           2
        .value_kind:     hidden_group_size_x
      - .offset:         70
        .size:           2
        .value_kind:     hidden_group_size_y
      - .offset:         72
        .size:           2
        .value_kind:     hidden_group_size_z
      - .offset:         74
        .size:           2
        .value_kind:     hidden_remainder_x
      - .offset:         76
        .size:           2
        .value_kind:     hidden_remainder_y
      - .offset:         78
        .size:           2
        .value_kind:     hidden_remainder_z
      - .offset:         96
        .size:           8
        .value_kind:     hidden_global_offset_x
      - .offset:         104
        .size:           8
        .value_kind:     hidden_global_offset_y
      - .offset:         112
        .size:           8
        .value_kind:     hidden_global_offset_z
      - .offset:         120
        .size:           2
        .value_kind:     hidden_grid_dims
    .group_segment_fixed_size: 68
    .kernarg_segment_align: 8
    .kernarg_segment_size: 312
    .language:       OpenCL C
    .language_version:
      - 2
      - 0
    .max_flat_workgroup_size: 1024
    .name:           _ZN4vllm32rms_norm_static_fp8_quant_kernelIN3c104HalfENS1_13Float8_e4m3fnEEEvPT0_PKT_iS8_PKffii
    .private_segment_fixed_size: 0
    .sgpr_count:     28
    .sgpr_spill_count: 0
    .symbol:         _ZN4vllm32rms_norm_static_fp8_quant_kernelIN3c104HalfENS1_13Float8_e4m3fnEEEvPT0_PKT_iS8_PKffii.kd
    .uniform_work_group_size: 1
    .uses_dynamic_stack: false
    .vgpr_count:     20
    .vgpr_spill_count: 0
    .wavefront_size: 64
  - .args:
      - .actual_access:  write_only
        .address_space:  global
        .offset:         0
        .size:           8
        .value_kind:     global_buffer
      - .actual_access:  read_only
        .address_space:  global
        .offset:         8
        .size:           8
        .value_kind:     global_buffer
      - .offset:         16
        .size:           4
        .value_kind:     by_value
      - .actual_access:  read_only
        .address_space:  global
        .offset:         24
        .size:           8
        .value_kind:     global_buffer
      - .actual_access:  read_only
        .address_space:  global
        .offset:         32
        .size:           8
        .value_kind:     global_buffer
      - .offset:         40
        .size:           4
        .value_kind:     by_value
      - .offset:         44
        .size:           4
        .value_kind:     by_value
      - .offset:         48
        .size:           4
        .value_kind:     by_value
      - .offset:         56
        .size:           4
        .value_kind:     hidden_block_count_x
      - .offset:         60
        .size:           4
        .value_kind:     hidden_block_count_y
      - .offset:         64
        .size:           4
        .value_kind:     hidden_block_count_z
      - .offset:         68
        .size:           2
        .value_kind:     hidden_group_size_x
      - .offset:         70
        .size:           2
        .value_kind:     hidden_group_size_y
      - .offset:         72
        .size:           2
        .value_kind:     hidden_group_size_z
      - .offset:         74
        .size:           2
        .value_kind:     hidden_remainder_x
      - .offset:         76
        .size:           2
        .value_kind:     hidden_remainder_y
      - .offset:         78
        .size:           2
        .value_kind:     hidden_remainder_z
      - .offset:         96
        .size:           8
        .value_kind:     hidden_global_offset_x
      - .offset:         104
        .size:           8
        .value_kind:     hidden_global_offset_y
      - .offset:         112
        .size:           8
        .value_kind:     hidden_global_offset_z
      - .offset:         120
        .size:           2
        .value_kind:     hidden_grid_dims
    .group_segment_fixed_size: 68
    .kernarg_segment_align: 8
    .kernarg_segment_size: 312
    .language:       OpenCL C
    .language_version:
      - 2
      - 0
    .max_flat_workgroup_size: 1024
    .name:           _ZN4vllm32rms_norm_static_fp8_quant_kernelIN3c104HalfENS1_15Float8_e4m3fnuzEEEvPT0_PKT_iS8_PKffii
    .private_segment_fixed_size: 0
    .sgpr_count:     26
    .sgpr_spill_count: 0
    .symbol:         _ZN4vllm32rms_norm_static_fp8_quant_kernelIN3c104HalfENS1_15Float8_e4m3fnuzEEEvPT0_PKT_iS8_PKffii.kd
    .uniform_work_group_size: 1
    .uses_dynamic_stack: false
    .vgpr_count:     20
    .vgpr_spill_count: 0
    .wavefront_size: 64
  - .args:
      - .actual_access:  write_only
        .address_space:  global
        .offset:         0
        .size:           8
        .value_kind:     global_buffer
      - .actual_access:  read_only
        .address_space:  global
        .offset:         8
        .size:           8
        .value_kind:     global_buffer
      - .offset:         16
        .size:           4
        .value_kind:     by_value
      - .actual_access:  read_only
        .address_space:  global
        .offset:         24
        .size:           8
        .value_kind:     global_buffer
      - .actual_access:  read_only
        .address_space:  global
        .offset:         32
        .size:           8
        .value_kind:     global_buffer
      - .offset:         40
        .size:           4
        .value_kind:     by_value
      - .offset:         44
        .size:           4
        .value_kind:     by_value
      - .offset:         48
        .size:           4
        .value_kind:     by_value
      - .offset:         56
        .size:           4
        .value_kind:     hidden_block_count_x
      - .offset:         60
        .size:           4
        .value_kind:     hidden_block_count_y
      - .offset:         64
        .size:           4
        .value_kind:     hidden_block_count_z
      - .offset:         68
        .size:           2
        .value_kind:     hidden_group_size_x
      - .offset:         70
        .size:           2
        .value_kind:     hidden_group_size_y
      - .offset:         72
        .size:           2
        .value_kind:     hidden_group_size_z
      - .offset:         74
        .size:           2
        .value_kind:     hidden_remainder_x
      - .offset:         76
        .size:           2
        .value_kind:     hidden_remainder_y
      - .offset:         78
        .size:           2
        .value_kind:     hidden_remainder_z
      - .offset:         96
        .size:           8
        .value_kind:     hidden_global_offset_x
      - .offset:         104
        .size:           8
        .value_kind:     hidden_global_offset_y
      - .offset:         112
        .size:           8
        .value_kind:     hidden_global_offset_z
      - .offset:         120
        .size:           2
        .value_kind:     hidden_grid_dims
    .group_segment_fixed_size: 68
    .kernarg_segment_align: 8
    .kernarg_segment_size: 312
    .language:       OpenCL C
    .language_version:
      - 2
      - 0
    .max_flat_workgroup_size: 1024
    .name:           _ZN4vllm32rms_norm_static_fp8_quant_kernelIN3c108BFloat16ENS1_13Float8_e4m3fnEEEvPT0_PKT_iS8_PKffii
    .private_segment_fixed_size: 0
    .sgpr_count:     30
    .sgpr_spill_count: 0
    .symbol:         _ZN4vllm32rms_norm_static_fp8_quant_kernelIN3c108BFloat16ENS1_13Float8_e4m3fnEEEvPT0_PKT_iS8_PKffii.kd
    .uniform_work_group_size: 1
    .uses_dynamic_stack: false
    .vgpr_count:     21
    .vgpr_spill_count: 0
    .wavefront_size: 64
  - .args:
      - .actual_access:  write_only
        .address_space:  global
        .offset:         0
        .size:           8
        .value_kind:     global_buffer
      - .actual_access:  read_only
        .address_space:  global
        .offset:         8
        .size:           8
        .value_kind:     global_buffer
      - .offset:         16
        .size:           4
        .value_kind:     by_value
      - .actual_access:  read_only
        .address_space:  global
        .offset:         24
        .size:           8
        .value_kind:     global_buffer
      - .actual_access:  read_only
        .address_space:  global
        .offset:         32
        .size:           8
        .value_kind:     global_buffer
      - .offset:         40
        .size:           4
        .value_kind:     by_value
      - .offset:         44
        .size:           4
        .value_kind:     by_value
      - .offset:         48
        .size:           4
        .value_kind:     by_value
      - .offset:         56
        .size:           4
        .value_kind:     hidden_block_count_x
      - .offset:         60
        .size:           4
        .value_kind:     hidden_block_count_y
      - .offset:         64
        .size:           4
        .value_kind:     hidden_block_count_z
      - .offset:         68
        .size:           2
        .value_kind:     hidden_group_size_x
      - .offset:         70
        .size:           2
        .value_kind:     hidden_group_size_y
      - .offset:         72
        .size:           2
        .value_kind:     hidden_group_size_z
      - .offset:         74
        .size:           2
        .value_kind:     hidden_remainder_x
      - .offset:         76
        .size:           2
        .value_kind:     hidden_remainder_y
      - .offset:         78
        .size:           2
        .value_kind:     hidden_remainder_z
      - .offset:         96
        .size:           8
        .value_kind:     hidden_global_offset_x
      - .offset:         104
        .size:           8
        .value_kind:     hidden_global_offset_y
      - .offset:         112
        .size:           8
        .value_kind:     hidden_global_offset_z
      - .offset:         120
        .size:           2
        .value_kind:     hidden_grid_dims
    .group_segment_fixed_size: 68
    .kernarg_segment_align: 8
    .kernarg_segment_size: 312
    .language:       OpenCL C
    .language_version:
      - 2
      - 0
    .max_flat_workgroup_size: 1024
    .name:           _ZN4vllm32rms_norm_static_fp8_quant_kernelIN3c108BFloat16ENS1_15Float8_e4m3fnuzEEEvPT0_PKT_iS8_PKffii
    .private_segment_fixed_size: 0
    .sgpr_count:     27
    .sgpr_spill_count: 0
    .symbol:         _ZN4vllm32rms_norm_static_fp8_quant_kernelIN3c108BFloat16ENS1_15Float8_e4m3fnuzEEEvPT0_PKT_iS8_PKffii.kd
    .uniform_work_group_size: 1
    .uses_dynamic_stack: false
    .vgpr_count:     21
    .vgpr_spill_count: 0
    .wavefront_size: 64
  - .args:
      - .actual_access:  write_only
        .address_space:  global
        .offset:         0
        .size:           8
        .value_kind:     global_buffer
      - .actual_access:  read_only
        .address_space:  global
        .offset:         8
        .size:           8
        .value_kind:     global_buffer
      - .offset:         16
        .size:           4
        .value_kind:     by_value
      - .address_space:  global
        .offset:         24
        .size:           8
        .value_kind:     global_buffer
      - .actual_access:  read_only
        .address_space:  global
        .offset:         32
        .size:           8
        .value_kind:     global_buffer
      - .actual_access:  read_only
        .address_space:  global
        .offset:         40
        .size:           8
        .value_kind:     global_buffer
      - .offset:         48
        .size:           4
        .value_kind:     by_value
      - .offset:         52
        .size:           4
        .value_kind:     by_value
      - .offset:         56
        .size:           4
        .value_kind:     by_value
      - .offset:         64
        .size:           4
        .value_kind:     hidden_block_count_x
      - .offset:         68
        .size:           4
        .value_kind:     hidden_block_count_y
      - .offset:         72
        .size:           4
        .value_kind:     hidden_block_count_z
      - .offset:         76
        .size:           2
        .value_kind:     hidden_group_size_x
      - .offset:         78
        .size:           2
        .value_kind:     hidden_group_size_y
      - .offset:         80
        .size:           2
        .value_kind:     hidden_group_size_z
      - .offset:         82
        .size:           2
        .value_kind:     hidden_remainder_x
      - .offset:         84
        .size:           2
        .value_kind:     hidden_remainder_y
      - .offset:         86
        .size:           2
        .value_kind:     hidden_remainder_z
      - .offset:         104
        .size:           8
        .value_kind:     hidden_global_offset_x
      - .offset:         112
        .size:           8
        .value_kind:     hidden_global_offset_y
      - .offset:         120
        .size:           8
        .value_kind:     hidden_global_offset_z
      - .offset:         128
        .size:           2
        .value_kind:     hidden_grid_dims
    .group_segment_fixed_size: 68
    .kernarg_segment_align: 8
    .kernarg_segment_size: 320
    .language:       OpenCL C
    .language_version:
      - 2
      - 0
    .max_flat_workgroup_size: 1024
    .name:           _ZN4vllm42fused_add_rms_norm_static_fp8_quant_kernelIfLi8EN3c1013Float8_e4m3fnEEENSt9enable_ifIXooeqT0_Li0Entsr12_typeConvertIT_EE6existsEvE4typeEPT1_PS4_iS9_PKS4_PKffii
    .private_segment_fixed_size: 0
    .sgpr_count:     28
    .sgpr_spill_count: 0
    .symbol:         _ZN4vllm42fused_add_rms_norm_static_fp8_quant_kernelIfLi8EN3c1013Float8_e4m3fnEEENSt9enable_ifIXooeqT0_Li0Entsr12_typeConvertIT_EE6existsEvE4typeEPT1_PS4_iS9_PKS4_PKffii.kd
    .uniform_work_group_size: 1
    .uses_dynamic_stack: false
    .vgpr_count:     20
    .vgpr_spill_count: 0
    .wavefront_size: 64
  - .args:
      - .actual_access:  write_only
        .address_space:  global
        .offset:         0
        .size:           8
        .value_kind:     global_buffer
      - .actual_access:  read_only
        .address_space:  global
        .offset:         8
        .size:           8
        .value_kind:     global_buffer
      - .offset:         16
        .size:           4
        .value_kind:     by_value
      - .address_space:  global
        .offset:         24
        .size:           8
        .value_kind:     global_buffer
      - .actual_access:  read_only
        .address_space:  global
        .offset:         32
        .size:           8
        .value_kind:     global_buffer
      - .actual_access:  read_only
        .address_space:  global
        .offset:         40
        .size:           8
        .value_kind:     global_buffer
      - .offset:         48
        .size:           4
        .value_kind:     by_value
      - .offset:         52
        .size:           4
        .value_kind:     by_value
      - .offset:         56
        .size:           4
        .value_kind:     by_value
      - .offset:         64
        .size:           4
        .value_kind:     hidden_block_count_x
      - .offset:         68
        .size:           4
        .value_kind:     hidden_block_count_y
      - .offset:         72
        .size:           4
        .value_kind:     hidden_block_count_z
      - .offset:         76
        .size:           2
        .value_kind:     hidden_group_size_x
      - .offset:         78
        .size:           2
        .value_kind:     hidden_group_size_y
      - .offset:         80
        .size:           2
        .value_kind:     hidden_group_size_z
      - .offset:         82
        .size:           2
        .value_kind:     hidden_remainder_x
      - .offset:         84
        .size:           2
        .value_kind:     hidden_remainder_y
      - .offset:         86
        .size:           2
        .value_kind:     hidden_remainder_z
      - .offset:         104
        .size:           8
        .value_kind:     hidden_global_offset_x
      - .offset:         112
        .size:           8
        .value_kind:     hidden_global_offset_y
      - .offset:         120
        .size:           8
        .value_kind:     hidden_global_offset_z
      - .offset:         128
        .size:           2
        .value_kind:     hidden_grid_dims
    .group_segment_fixed_size: 68
    .kernarg_segment_align: 8
    .kernarg_segment_size: 320
    .language:       OpenCL C
    .language_version:
      - 2
      - 0
    .max_flat_workgroup_size: 1024
    .name:           _ZN4vllm42fused_add_rms_norm_static_fp8_quant_kernelIfLi8EN3c1015Float8_e4m3fnuzEEENSt9enable_ifIXooeqT0_Li0Entsr12_typeConvertIT_EE6existsEvE4typeEPT1_PS4_iS9_PKS4_PKffii
    .private_segment_fixed_size: 0
    .sgpr_count:     27
    .sgpr_spill_count: 0
    .symbol:         _ZN4vllm42fused_add_rms_norm_static_fp8_quant_kernelIfLi8EN3c1015Float8_e4m3fnuzEEENSt9enable_ifIXooeqT0_Li0Entsr12_typeConvertIT_EE6existsEvE4typeEPT1_PS4_iS9_PKS4_PKffii.kd
    .uniform_work_group_size: 1
    .uses_dynamic_stack: false
    .vgpr_count:     20
    .vgpr_spill_count: 0
    .wavefront_size: 64
  - .args:
      - .actual_access:  write_only
        .address_space:  global
        .offset:         0
        .size:           8
        .value_kind:     global_buffer
      - .actual_access:  read_only
        .address_space:  global
        .offset:         8
        .size:           8
        .value_kind:     global_buffer
      - .offset:         16
        .size:           4
        .value_kind:     by_value
      - .address_space:  global
        .offset:         24
        .size:           8
        .value_kind:     global_buffer
      - .actual_access:  read_only
        .address_space:  global
        .offset:         32
        .size:           8
        .value_kind:     global_buffer
      - .actual_access:  read_only
        .address_space:  global
        .offset:         40
        .size:           8
        .value_kind:     global_buffer
      - .offset:         48
        .size:           4
        .value_kind:     by_value
      - .offset:         52
        .size:           4
        .value_kind:     by_value
      - .offset:         56
        .size:           4
        .value_kind:     by_value
      - .offset:         64
        .size:           4
        .value_kind:     hidden_block_count_x
      - .offset:         68
        .size:           4
        .value_kind:     hidden_block_count_y
      - .offset:         72
        .size:           4
        .value_kind:     hidden_block_count_z
      - .offset:         76
        .size:           2
        .value_kind:     hidden_group_size_x
      - .offset:         78
        .size:           2
        .value_kind:     hidden_group_size_y
      - .offset:         80
        .size:           2
        .value_kind:     hidden_group_size_z
      - .offset:         82
        .size:           2
        .value_kind:     hidden_remainder_x
      - .offset:         84
        .size:           2
        .value_kind:     hidden_remainder_y
      - .offset:         86
        .size:           2
        .value_kind:     hidden_remainder_z
      - .offset:         104
        .size:           8
        .value_kind:     hidden_global_offset_x
      - .offset:         112
        .size:           8
        .value_kind:     hidden_global_offset_y
      - .offset:         120
        .size:           8
        .value_kind:     hidden_global_offset_z
      - .offset:         128
        .size:           2
        .value_kind:     hidden_grid_dims
    .group_segment_fixed_size: 68
    .kernarg_segment_align: 8
    .kernarg_segment_size: 320
    .language:       OpenCL C
    .language_version:
      - 2
      - 0
    .max_flat_workgroup_size: 1024
    .name:           _ZN4vllm42fused_add_rms_norm_static_fp8_quant_kernelIN3c104HalfELi8ENS1_13Float8_e4m3fnEEENSt9enable_ifIXaagtT0_Li0Esr12_typeConvertIT_EE6existsEvE4typeEPT1_PS5_iSA_PKS5_PKffii
    .private_segment_fixed_size: 0
    .sgpr_count:     28
    .sgpr_spill_count: 0
    .symbol:         _ZN4vllm42fused_add_rms_norm_static_fp8_quant_kernelIN3c104HalfELi8ENS1_13Float8_e4m3fnEEENSt9enable_ifIXaagtT0_Li0Esr12_typeConvertIT_EE6existsEvE4typeEPT1_PS5_iSA_PKS5_PKffii.kd
    .uniform_work_group_size: 1
    .uses_dynamic_stack: false
    .vgpr_count:     31
    .vgpr_spill_count: 0
    .wavefront_size: 64
  - .args:
      - .actual_access:  write_only
        .address_space:  global
        .offset:         0
        .size:           8
        .value_kind:     global_buffer
      - .actual_access:  read_only
        .address_space:  global
        .offset:         8
        .size:           8
        .value_kind:     global_buffer
      - .offset:         16
        .size:           4
        .value_kind:     by_value
      - .address_space:  global
        .offset:         24
        .size:           8
        .value_kind:     global_buffer
      - .actual_access:  read_only
        .address_space:  global
        .offset:         32
        .size:           8
        .value_kind:     global_buffer
      - .actual_access:  read_only
        .address_space:  global
        .offset:         40
        .size:           8
        .value_kind:     global_buffer
      - .offset:         48
        .size:           4
        .value_kind:     by_value
      - .offset:         52
        .size:           4
        .value_kind:     by_value
      - .offset:         56
        .size:           4
        .value_kind:     by_value
      - .offset:         64
        .size:           4
        .value_kind:     hidden_block_count_x
      - .offset:         68
        .size:           4
        .value_kind:     hidden_block_count_y
      - .offset:         72
        .size:           4
        .value_kind:     hidden_block_count_z
      - .offset:         76
        .size:           2
        .value_kind:     hidden_group_size_x
      - .offset:         78
        .size:           2
        .value_kind:     hidden_group_size_y
      - .offset:         80
        .size:           2
        .value_kind:     hidden_group_size_z
      - .offset:         82
        .size:           2
        .value_kind:     hidden_remainder_x
      - .offset:         84
        .size:           2
        .value_kind:     hidden_remainder_y
      - .offset:         86
        .size:           2
        .value_kind:     hidden_remainder_z
      - .offset:         104
        .size:           8
        .value_kind:     hidden_global_offset_x
      - .offset:         112
        .size:           8
        .value_kind:     hidden_global_offset_y
      - .offset:         120
        .size:           8
        .value_kind:     hidden_global_offset_z
      - .offset:         128
        .size:           2
        .value_kind:     hidden_grid_dims
    .group_segment_fixed_size: 68
    .kernarg_segment_align: 8
    .kernarg_segment_size: 320
    .language:       OpenCL C
    .language_version:
      - 2
      - 0
    .max_flat_workgroup_size: 1024
    .name:           _ZN4vllm42fused_add_rms_norm_static_fp8_quant_kernelIN3c104HalfELi8ENS1_15Float8_e4m3fnuzEEENSt9enable_ifIXaagtT0_Li0Esr12_typeConvertIT_EE6existsEvE4typeEPT1_PS5_iSA_PKS5_PKffii
    .private_segment_fixed_size: 0
    .sgpr_count:     27
    .sgpr_spill_count: 0
    .symbol:         _ZN4vllm42fused_add_rms_norm_static_fp8_quant_kernelIN3c104HalfELi8ENS1_15Float8_e4m3fnuzEEENSt9enable_ifIXaagtT0_Li0Esr12_typeConvertIT_EE6existsEvE4typeEPT1_PS5_iSA_PKS5_PKffii.kd
    .uniform_work_group_size: 1
    .uses_dynamic_stack: false
    .vgpr_count:     31
    .vgpr_spill_count: 0
    .wavefront_size: 64
  - .args:
      - .actual_access:  write_only
        .address_space:  global
        .offset:         0
        .size:           8
        .value_kind:     global_buffer
      - .actual_access:  read_only
        .address_space:  global
        .offset:         8
        .size:           8
        .value_kind:     global_buffer
      - .offset:         16
        .size:           4
        .value_kind:     by_value
      - .address_space:  global
        .offset:         24
        .size:           8
        .value_kind:     global_buffer
      - .actual_access:  read_only
        .address_space:  global
        .offset:         32
        .size:           8
        .value_kind:     global_buffer
      - .actual_access:  read_only
        .address_space:  global
        .offset:         40
        .size:           8
        .value_kind:     global_buffer
      - .offset:         48
        .size:           4
        .value_kind:     by_value
      - .offset:         52
        .size:           4
        .value_kind:     by_value
      - .offset:         56
        .size:           4
        .value_kind:     by_value
      - .offset:         64
        .size:           4
        .value_kind:     hidden_block_count_x
      - .offset:         68
        .size:           4
        .value_kind:     hidden_block_count_y
      - .offset:         72
        .size:           4
        .value_kind:     hidden_block_count_z
      - .offset:         76
        .size:           2
        .value_kind:     hidden_group_size_x
      - .offset:         78
        .size:           2
        .value_kind:     hidden_group_size_y
      - .offset:         80
        .size:           2
        .value_kind:     hidden_group_size_z
      - .offset:         82
        .size:           2
        .value_kind:     hidden_remainder_x
      - .offset:         84
        .size:           2
        .value_kind:     hidden_remainder_y
      - .offset:         86
        .size:           2
        .value_kind:     hidden_remainder_z
      - .offset:         104
        .size:           8
        .value_kind:     hidden_global_offset_x
      - .offset:         112
        .size:           8
        .value_kind:     hidden_global_offset_y
      - .offset:         120
        .size:           8
        .value_kind:     hidden_global_offset_z
      - .offset:         128
        .size:           2
        .value_kind:     hidden_grid_dims
    .group_segment_fixed_size: 68
    .kernarg_segment_align: 8
    .kernarg_segment_size: 320
    .language:       OpenCL C
    .language_version:
      - 2
      - 0
    .max_flat_workgroup_size: 1024
    .name:           _ZN4vllm42fused_add_rms_norm_static_fp8_quant_kernelIN3c108BFloat16ELi8ENS1_13Float8_e4m3fnEEENSt9enable_ifIXooeqT0_Li0Entsr12_typeConvertIT_EE6existsEvE4typeEPT1_PS5_iSA_PKS5_PKffii
    .private_segment_fixed_size: 0
    .sgpr_count:     30
    .sgpr_spill_count: 0
    .symbol:         _ZN4vllm42fused_add_rms_norm_static_fp8_quant_kernelIN3c108BFloat16ELi8ENS1_13Float8_e4m3fnEEENSt9enable_ifIXooeqT0_Li0Entsr12_typeConvertIT_EE6existsEvE4typeEPT1_PS5_iSA_PKS5_PKffii.kd
    .uniform_work_group_size: 1
    .uses_dynamic_stack: false
    .vgpr_count:     21
    .vgpr_spill_count: 0
    .wavefront_size: 64
  - .args:
      - .actual_access:  write_only
        .address_space:  global
        .offset:         0
        .size:           8
        .value_kind:     global_buffer
      - .actual_access:  read_only
        .address_space:  global
        .offset:         8
        .size:           8
        .value_kind:     global_buffer
      - .offset:         16
        .size:           4
        .value_kind:     by_value
      - .address_space:  global
        .offset:         24
        .size:           8
        .value_kind:     global_buffer
      - .actual_access:  read_only
        .address_space:  global
        .offset:         32
        .size:           8
        .value_kind:     global_buffer
      - .actual_access:  read_only
        .address_space:  global
        .offset:         40
        .size:           8
        .value_kind:     global_buffer
      - .offset:         48
        .size:           4
        .value_kind:     by_value
      - .offset:         52
        .size:           4
        .value_kind:     by_value
      - .offset:         56
        .size:           4
        .value_kind:     by_value
      - .offset:         64
        .size:           4
        .value_kind:     hidden_block_count_x
      - .offset:         68
        .size:           4
        .value_kind:     hidden_block_count_y
      - .offset:         72
        .size:           4
        .value_kind:     hidden_block_count_z
      - .offset:         76
        .size:           2
        .value_kind:     hidden_group_size_x
      - .offset:         78
        .size:           2
        .value_kind:     hidden_group_size_y
      - .offset:         80
        .size:           2
        .value_kind:     hidden_group_size_z
      - .offset:         82
        .size:           2
        .value_kind:     hidden_remainder_x
      - .offset:         84
        .size:           2
        .value_kind:     hidden_remainder_y
      - .offset:         86
        .size:           2
        .value_kind:     hidden_remainder_z
      - .offset:         104
        .size:           8
        .value_kind:     hidden_global_offset_x
      - .offset:         112
        .size:           8
        .value_kind:     hidden_global_offset_y
      - .offset:         120
        .size:           8
        .value_kind:     hidden_global_offset_z
      - .offset:         128
        .size:           2
        .value_kind:     hidden_grid_dims
    .group_segment_fixed_size: 68
    .kernarg_segment_align: 8
    .kernarg_segment_size: 320
    .language:       OpenCL C
    .language_version:
      - 2
      - 0
    .max_flat_workgroup_size: 1024
    .name:           _ZN4vllm42fused_add_rms_norm_static_fp8_quant_kernelIN3c108BFloat16ELi8ENS1_15Float8_e4m3fnuzEEENSt9enable_ifIXooeqT0_Li0Entsr12_typeConvertIT_EE6existsEvE4typeEPT1_PS5_iSA_PKS5_PKffii
    .private_segment_fixed_size: 0
    .sgpr_count:     27
    .sgpr_spill_count: 0
    .symbol:         _ZN4vllm42fused_add_rms_norm_static_fp8_quant_kernelIN3c108BFloat16ELi8ENS1_15Float8_e4m3fnuzEEENSt9enable_ifIXooeqT0_Li0Entsr12_typeConvertIT_EE6existsEvE4typeEPT1_PS5_iSA_PKS5_PKffii.kd
    .uniform_work_group_size: 1
    .uses_dynamic_stack: false
    .vgpr_count:     21
    .vgpr_spill_count: 0
    .wavefront_size: 64
  - .args:
      - .actual_access:  write_only
        .address_space:  global
        .offset:         0
        .size:           8
        .value_kind:     global_buffer
      - .actual_access:  read_only
        .address_space:  global
        .offset:         8
        .size:           8
        .value_kind:     global_buffer
      - .offset:         16
        .size:           4
        .value_kind:     by_value
      - .address_space:  global
        .offset:         24
        .size:           8
        .value_kind:     global_buffer
      - .actual_access:  read_only
        .address_space:  global
        .offset:         32
        .size:           8
        .value_kind:     global_buffer
      - .actual_access:  read_only
        .address_space:  global
        .offset:         40
        .size:           8
        .value_kind:     global_buffer
      - .offset:         48
        .size:           4
        .value_kind:     by_value
      - .offset:         52
        .size:           4
        .value_kind:     by_value
      - .offset:         56
        .size:           4
        .value_kind:     by_value
      - .offset:         64
        .size:           4
        .value_kind:     hidden_block_count_x
      - .offset:         68
        .size:           4
        .value_kind:     hidden_block_count_y
      - .offset:         72
        .size:           4
        .value_kind:     hidden_block_count_z
      - .offset:         76
        .size:           2
        .value_kind:     hidden_group_size_x
      - .offset:         78
        .size:           2
        .value_kind:     hidden_group_size_y
      - .offset:         80
        .size:           2
        .value_kind:     hidden_group_size_z
      - .offset:         82
        .size:           2
        .value_kind:     hidden_remainder_x
      - .offset:         84
        .size:           2
        .value_kind:     hidden_remainder_y
      - .offset:         86
        .size:           2
        .value_kind:     hidden_remainder_z
      - .offset:         104
        .size:           8
        .value_kind:     hidden_global_offset_x
      - .offset:         112
        .size:           8
        .value_kind:     hidden_global_offset_y
      - .offset:         120
        .size:           8
        .value_kind:     hidden_global_offset_z
      - .offset:         128
        .size:           2
        .value_kind:     hidden_grid_dims
    .group_segment_fixed_size: 68
    .kernarg_segment_align: 8
    .kernarg_segment_size: 320
    .language:       OpenCL C
    .language_version:
      - 2
      - 0
    .max_flat_workgroup_size: 1024
    .name:           _ZN4vllm42fused_add_rms_norm_static_fp8_quant_kernelIfLi0EN3c1013Float8_e4m3fnEEENSt9enable_ifIXooeqT0_Li0Entsr12_typeConvertIT_EE6existsEvE4typeEPT1_PS4_iS9_PKS4_PKffii
    .private_segment_fixed_size: 0
    .sgpr_count:     28
    .sgpr_spill_count: 0
    .symbol:         _ZN4vllm42fused_add_rms_norm_static_fp8_quant_kernelIfLi0EN3c1013Float8_e4m3fnEEENSt9enable_ifIXooeqT0_Li0Entsr12_typeConvertIT_EE6existsEvE4typeEPT1_PS4_iS9_PKS4_PKffii.kd
    .uniform_work_group_size: 1
    .uses_dynamic_stack: false
    .vgpr_count:     20
    .vgpr_spill_count: 0
    .wavefront_size: 64
  - .args:
      - .actual_access:  write_only
        .address_space:  global
        .offset:         0
        .size:           8
        .value_kind:     global_buffer
      - .actual_access:  read_only
        .address_space:  global
        .offset:         8
        .size:           8
        .value_kind:     global_buffer
      - .offset:         16
        .size:           4
        .value_kind:     by_value
      - .address_space:  global
        .offset:         24
        .size:           8
        .value_kind:     global_buffer
      - .actual_access:  read_only
        .address_space:  global
        .offset:         32
        .size:           8
        .value_kind:     global_buffer
      - .actual_access:  read_only
        .address_space:  global
        .offset:         40
        .size:           8
        .value_kind:     global_buffer
      - .offset:         48
        .size:           4
        .value_kind:     by_value
      - .offset:         52
        .size:           4
        .value_kind:     by_value
      - .offset:         56
        .size:           4
        .value_kind:     by_value
      - .offset:         64
        .size:           4
        .value_kind:     hidden_block_count_x
      - .offset:         68
        .size:           4
        .value_kind:     hidden_block_count_y
      - .offset:         72
        .size:           4
        .value_kind:     hidden_block_count_z
      - .offset:         76
        .size:           2
        .value_kind:     hidden_group_size_x
      - .offset:         78
        .size:           2
        .value_kind:     hidden_group_size_y
      - .offset:         80
        .size:           2
        .value_kind:     hidden_group_size_z
      - .offset:         82
        .size:           2
        .value_kind:     hidden_remainder_x
      - .offset:         84
        .size:           2
        .value_kind:     hidden_remainder_y
      - .offset:         86
        .size:           2
        .value_kind:     hidden_remainder_z
      - .offset:         104
        .size:           8
        .value_kind:     hidden_global_offset_x
      - .offset:         112
        .size:           8
        .value_kind:     hidden_global_offset_y
      - .offset:         120
        .size:           8
        .value_kind:     hidden_global_offset_z
      - .offset:         128
        .size:           2
        .value_kind:     hidden_grid_dims
    .group_segment_fixed_size: 68
    .kernarg_segment_align: 8
    .kernarg_segment_size: 320
    .language:       OpenCL C
    .language_version:
      - 2
      - 0
    .max_flat_workgroup_size: 1024
    .name:           _ZN4vllm42fused_add_rms_norm_static_fp8_quant_kernelIfLi0EN3c1015Float8_e4m3fnuzEEENSt9enable_ifIXooeqT0_Li0Entsr12_typeConvertIT_EE6existsEvE4typeEPT1_PS4_iS9_PKS4_PKffii
    .private_segment_fixed_size: 0
    .sgpr_count:     27
    .sgpr_spill_count: 0
    .symbol:         _ZN4vllm42fused_add_rms_norm_static_fp8_quant_kernelIfLi0EN3c1015Float8_e4m3fnuzEEENSt9enable_ifIXooeqT0_Li0Entsr12_typeConvertIT_EE6existsEvE4typeEPT1_PS4_iS9_PKS4_PKffii.kd
    .uniform_work_group_size: 1
    .uses_dynamic_stack: false
    .vgpr_count:     20
    .vgpr_spill_count: 0
    .wavefront_size: 64
  - .args:
      - .actual_access:  write_only
        .address_space:  global
        .offset:         0
        .size:           8
        .value_kind:     global_buffer
      - .actual_access:  read_only
        .address_space:  global
        .offset:         8
        .size:           8
        .value_kind:     global_buffer
      - .offset:         16
        .size:           4
        .value_kind:     by_value
      - .address_space:  global
        .offset:         24
        .size:           8
        .value_kind:     global_buffer
      - .actual_access:  read_only
        .address_space:  global
        .offset:         32
        .size:           8
        .value_kind:     global_buffer
      - .actual_access:  read_only
        .address_space:  global
        .offset:         40
        .size:           8
        .value_kind:     global_buffer
      - .offset:         48
        .size:           4
        .value_kind:     by_value
      - .offset:         52
        .size:           4
        .value_kind:     by_value
      - .offset:         56
        .size:           4
        .value_kind:     by_value
      - .offset:         64
        .size:           4
        .value_kind:     hidden_block_count_x
      - .offset:         68
        .size:           4
        .value_kind:     hidden_block_count_y
      - .offset:         72
        .size:           4
        .value_kind:     hidden_block_count_z
      - .offset:         76
        .size:           2
        .value_kind:     hidden_group_size_x
      - .offset:         78
        .size:           2
        .value_kind:     hidden_group_size_y
      - .offset:         80
        .size:           2
        .value_kind:     hidden_group_size_z
      - .offset:         82
        .size:           2
        .value_kind:     hidden_remainder_x
      - .offset:         84
        .size:           2
        .value_kind:     hidden_remainder_y
      - .offset:         86
        .size:           2
        .value_kind:     hidden_remainder_z
      - .offset:         104
        .size:           8
        .value_kind:     hidden_global_offset_x
      - .offset:         112
        .size:           8
        .value_kind:     hidden_global_offset_y
      - .offset:         120
        .size:           8
        .value_kind:     hidden_global_offset_z
      - .offset:         128
        .size:           2
        .value_kind:     hidden_grid_dims
    .group_segment_fixed_size: 68
    .kernarg_segment_align: 8
    .kernarg_segment_size: 320
    .language:       OpenCL C
    .language_version:
      - 2
      - 0
    .max_flat_workgroup_size: 1024
    .name:           _ZN4vllm42fused_add_rms_norm_static_fp8_quant_kernelIN3c104HalfELi0ENS1_13Float8_e4m3fnEEENSt9enable_ifIXooeqT0_Li0Entsr12_typeConvertIT_EE6existsEvE4typeEPT1_PS5_iSA_PKS5_PKffii
    .private_segment_fixed_size: 0
    .sgpr_count:     28
    .sgpr_spill_count: 0
    .symbol:         _ZN4vllm42fused_add_rms_norm_static_fp8_quant_kernelIN3c104HalfELi0ENS1_13Float8_e4m3fnEEENSt9enable_ifIXooeqT0_Li0Entsr12_typeConvertIT_EE6existsEvE4typeEPT1_PS5_iSA_PKS5_PKffii.kd
    .uniform_work_group_size: 1
    .uses_dynamic_stack: false
    .vgpr_count:     20
    .vgpr_spill_count: 0
    .wavefront_size: 64
  - .args:
      - .actual_access:  write_only
        .address_space:  global
        .offset:         0
        .size:           8
        .value_kind:     global_buffer
      - .actual_access:  read_only
        .address_space:  global
        .offset:         8
        .size:           8
        .value_kind:     global_buffer
      - .offset:         16
        .size:           4
        .value_kind:     by_value
      - .address_space:  global
        .offset:         24
        .size:           8
        .value_kind:     global_buffer
      - .actual_access:  read_only
        .address_space:  global
        .offset:         32
        .size:           8
        .value_kind:     global_buffer
      - .actual_access:  read_only
        .address_space:  global
        .offset:         40
        .size:           8
        .value_kind:     global_buffer
      - .offset:         48
        .size:           4
        .value_kind:     by_value
      - .offset:         52
        .size:           4
        .value_kind:     by_value
      - .offset:         56
        .size:           4
        .value_kind:     by_value
      - .offset:         64
        .size:           4
        .value_kind:     hidden_block_count_x
      - .offset:         68
        .size:           4
        .value_kind:     hidden_block_count_y
      - .offset:         72
        .size:           4
        .value_kind:     hidden_block_count_z
      - .offset:         76
        .size:           2
        .value_kind:     hidden_group_size_x
      - .offset:         78
        .size:           2
        .value_kind:     hidden_group_size_y
      - .offset:         80
        .size:           2
        .value_kind:     hidden_group_size_z
      - .offset:         82
        .size:           2
        .value_kind:     hidden_remainder_x
      - .offset:         84
        .size:           2
        .value_kind:     hidden_remainder_y
      - .offset:         86
        .size:           2
        .value_kind:     hidden_remainder_z
      - .offset:         104
        .size:           8
        .value_kind:     hidden_global_offset_x
      - .offset:         112
        .size:           8
        .value_kind:     hidden_global_offset_y
      - .offset:         120
        .size:           8
        .value_kind:     hidden_global_offset_z
      - .offset:         128
        .size:           2
        .value_kind:     hidden_grid_dims
    .group_segment_fixed_size: 68
    .kernarg_segment_align: 8
    .kernarg_segment_size: 320
    .language:       OpenCL C
    .language_version:
      - 2
      - 0
    .max_flat_workgroup_size: 1024
    .name:           _ZN4vllm42fused_add_rms_norm_static_fp8_quant_kernelIN3c104HalfELi0ENS1_15Float8_e4m3fnuzEEENSt9enable_ifIXooeqT0_Li0Entsr12_typeConvertIT_EE6existsEvE4typeEPT1_PS5_iSA_PKS5_PKffii
    .private_segment_fixed_size: 0
    .sgpr_count:     27
    .sgpr_spill_count: 0
    .symbol:         _ZN4vllm42fused_add_rms_norm_static_fp8_quant_kernelIN3c104HalfELi0ENS1_15Float8_e4m3fnuzEEENSt9enable_ifIXooeqT0_Li0Entsr12_typeConvertIT_EE6existsEvE4typeEPT1_PS5_iSA_PKS5_PKffii.kd
    .uniform_work_group_size: 1
    .uses_dynamic_stack: false
    .vgpr_count:     20
    .vgpr_spill_count: 0
    .wavefront_size: 64
  - .args:
      - .actual_access:  write_only
        .address_space:  global
        .offset:         0
        .size:           8
        .value_kind:     global_buffer
      - .actual_access:  read_only
        .address_space:  global
        .offset:         8
        .size:           8
        .value_kind:     global_buffer
      - .offset:         16
        .size:           4
        .value_kind:     by_value
      - .address_space:  global
        .offset:         24
        .size:           8
        .value_kind:     global_buffer
      - .actual_access:  read_only
        .address_space:  global
        .offset:         32
        .size:           8
        .value_kind:     global_buffer
      - .actual_access:  read_only
        .address_space:  global
        .offset:         40
        .size:           8
        .value_kind:     global_buffer
      - .offset:         48
        .size:           4
        .value_kind:     by_value
      - .offset:         52
        .size:           4
        .value_kind:     by_value
      - .offset:         56
        .size:           4
        .value_kind:     by_value
      - .offset:         64
        .size:           4
        .value_kind:     hidden_block_count_x
      - .offset:         68
        .size:           4
        .value_kind:     hidden_block_count_y
      - .offset:         72
        .size:           4
        .value_kind:     hidden_block_count_z
      - .offset:         76
        .size:           2
        .value_kind:     hidden_group_size_x
      - .offset:         78
        .size:           2
        .value_kind:     hidden_group_size_y
      - .offset:         80
        .size:           2
        .value_kind:     hidden_group_size_z
      - .offset:         82
        .size:           2
        .value_kind:     hidden_remainder_x
      - .offset:         84
        .size:           2
        .value_kind:     hidden_remainder_y
      - .offset:         86
        .size:           2
        .value_kind:     hidden_remainder_z
      - .offset:         104
        .size:           8
        .value_kind:     hidden_global_offset_x
      - .offset:         112
        .size:           8
        .value_kind:     hidden_global_offset_y
      - .offset:         120
        .size:           8
        .value_kind:     hidden_global_offset_z
      - .offset:         128
        .size:           2
        .value_kind:     hidden_grid_dims
    .group_segment_fixed_size: 68
    .kernarg_segment_align: 8
    .kernarg_segment_size: 320
    .language:       OpenCL C
    .language_version:
      - 2
      - 0
    .max_flat_workgroup_size: 1024
    .name:           _ZN4vllm42fused_add_rms_norm_static_fp8_quant_kernelIN3c108BFloat16ELi0ENS1_13Float8_e4m3fnEEENSt9enable_ifIXooeqT0_Li0Entsr12_typeConvertIT_EE6existsEvE4typeEPT1_PS5_iSA_PKS5_PKffii
    .private_segment_fixed_size: 0
    .sgpr_count:     30
    .sgpr_spill_count: 0
    .symbol:         _ZN4vllm42fused_add_rms_norm_static_fp8_quant_kernelIN3c108BFloat16ELi0ENS1_13Float8_e4m3fnEEENSt9enable_ifIXooeqT0_Li0Entsr12_typeConvertIT_EE6existsEvE4typeEPT1_PS5_iSA_PKS5_PKffii.kd
    .uniform_work_group_size: 1
    .uses_dynamic_stack: false
    .vgpr_count:     21
    .vgpr_spill_count: 0
    .wavefront_size: 64
  - .args:
      - .actual_access:  write_only
        .address_space:  global
        .offset:         0
        .size:           8
        .value_kind:     global_buffer
      - .actual_access:  read_only
        .address_space:  global
        .offset:         8
        .size:           8
        .value_kind:     global_buffer
      - .offset:         16
        .size:           4
        .value_kind:     by_value
      - .address_space:  global
        .offset:         24
        .size:           8
        .value_kind:     global_buffer
      - .actual_access:  read_only
        .address_space:  global
        .offset:         32
        .size:           8
        .value_kind:     global_buffer
      - .actual_access:  read_only
        .address_space:  global
        .offset:         40
        .size:           8
        .value_kind:     global_buffer
      - .offset:         48
        .size:           4
        .value_kind:     by_value
      - .offset:         52
        .size:           4
        .value_kind:     by_value
      - .offset:         56
        .size:           4
        .value_kind:     by_value
      - .offset:         64
        .size:           4
        .value_kind:     hidden_block_count_x
      - .offset:         68
        .size:           4
        .value_kind:     hidden_block_count_y
      - .offset:         72
        .size:           4
        .value_kind:     hidden_block_count_z
      - .offset:         76
        .size:           2
        .value_kind:     hidden_group_size_x
      - .offset:         78
        .size:           2
        .value_kind:     hidden_group_size_y
      - .offset:         80
        .size:           2
        .value_kind:     hidden_group_size_z
      - .offset:         82
        .size:           2
        .value_kind:     hidden_remainder_x
      - .offset:         84
        .size:           2
        .value_kind:     hidden_remainder_y
      - .offset:         86
        .size:           2
        .value_kind:     hidden_remainder_z
      - .offset:         104
        .size:           8
        .value_kind:     hidden_global_offset_x
      - .offset:         112
        .size:           8
        .value_kind:     hidden_global_offset_y
      - .offset:         120
        .size:           8
        .value_kind:     hidden_global_offset_z
      - .offset:         128
        .size:           2
        .value_kind:     hidden_grid_dims
    .group_segment_fixed_size: 68
    .kernarg_segment_align: 8
    .kernarg_segment_size: 320
    .language:       OpenCL C
    .language_version:
      - 2
      - 0
    .max_flat_workgroup_size: 1024
    .name:           _ZN4vllm42fused_add_rms_norm_static_fp8_quant_kernelIN3c108BFloat16ELi0ENS1_15Float8_e4m3fnuzEEENSt9enable_ifIXooeqT0_Li0Entsr12_typeConvertIT_EE6existsEvE4typeEPT1_PS5_iSA_PKS5_PKffii
    .private_segment_fixed_size: 0
    .sgpr_count:     27
    .sgpr_spill_count: 0
    .symbol:         _ZN4vllm42fused_add_rms_norm_static_fp8_quant_kernelIN3c108BFloat16ELi0ENS1_15Float8_e4m3fnuzEEENSt9enable_ifIXooeqT0_Li0Entsr12_typeConvertIT_EE6existsEvE4typeEPT1_PS5_iSA_PKS5_PKffii.kd
    .uniform_work_group_size: 1
    .uses_dynamic_stack: false
    .vgpr_count:     21
    .vgpr_spill_count: 0
    .wavefront_size: 64
amdhsa.target:   amdgcn-amd-amdhsa--gfx906
amdhsa.version:
  - 1
  - 2
...

	.end_amdgpu_metadata
